;; amdgpu-corpus repo=ROCm/rocFFT kind=compiled arch=gfx1030 opt=O3
	.text
	.amdgcn_target "amdgcn-amd-amdhsa--gfx1030"
	.amdhsa_code_object_version 6
	.protected	fft_rtc_back_len1638_factors_13_2_3_7_3_wgs_182_tpt_182_halfLds_half_op_CI_CI_sbrr_dirReg ; -- Begin function fft_rtc_back_len1638_factors_13_2_3_7_3_wgs_182_tpt_182_halfLds_half_op_CI_CI_sbrr_dirReg
	.globl	fft_rtc_back_len1638_factors_13_2_3_7_3_wgs_182_tpt_182_halfLds_half_op_CI_CI_sbrr_dirReg
	.p2align	8
	.type	fft_rtc_back_len1638_factors_13_2_3_7_3_wgs_182_tpt_182_halfLds_half_op_CI_CI_sbrr_dirReg,@function
fft_rtc_back_len1638_factors_13_2_3_7_3_wgs_182_tpt_182_halfLds_half_op_CI_CI_sbrr_dirReg: ; @fft_rtc_back_len1638_factors_13_2_3_7_3_wgs_182_tpt_182_halfLds_half_op_CI_CI_sbrr_dirReg
; %bb.0:
	s_clause 0x2
	s_load_dwordx4 s[16:19], s[4:5], 0x18
	s_load_dwordx4 s[12:15], s[4:5], 0x0
	;; [unrolled: 1-line block ×3, first 2 shown]
	v_mul_u32_u24_e32 v1, 0x169, v0
	v_mov_b32_e32 v7, 0
	v_mov_b32_e32 v5, 0
	;; [unrolled: 1-line block ×3, first 2 shown]
	s_waitcnt lgkmcnt(0)
	s_load_dwordx2 s[20:21], s[16:17], 0x0
	s_load_dwordx2 s[2:3], s[18:19], 0x0
	v_cmp_lt_u64_e64 s0, s[14:15], 2
	v_add_nc_u32_sdwa v9, s6, v1 dst_sel:DWORD dst_unused:UNUSED_PAD src0_sel:DWORD src1_sel:WORD_1
	v_mov_b32_e32 v10, v7
	s_and_b32 vcc_lo, exec_lo, s0
	s_cbranch_vccnz .LBB0_8
; %bb.1:
	s_load_dwordx2 s[0:1], s[4:5], 0x10
	v_mov_b32_e32 v5, 0
	v_mov_b32_e32 v6, 0
	s_add_u32 s6, s18, 8
	s_addc_u32 s7, s19, 0
	v_mov_b32_e32 v1, v5
	s_add_u32 s22, s16, 8
	v_mov_b32_e32 v2, v6
	s_addc_u32 s23, s17, 0
	s_mov_b64 s[26:27], 1
	s_waitcnt lgkmcnt(0)
	s_add_u32 s24, s0, 8
	s_addc_u32 s25, s1, 0
.LBB0_2:                                ; =>This Inner Loop Header: Depth=1
	s_load_dwordx2 s[28:29], s[24:25], 0x0
                                        ; implicit-def: $vgpr3_vgpr4
	s_mov_b32 s0, exec_lo
	s_waitcnt lgkmcnt(0)
	v_or_b32_e32 v8, s29, v10
	v_cmpx_ne_u64_e32 0, v[7:8]
	s_xor_b32 s1, exec_lo, s0
	s_cbranch_execz .LBB0_4
; %bb.3:                                ;   in Loop: Header=BB0_2 Depth=1
	v_cvt_f32_u32_e32 v3, s28
	v_cvt_f32_u32_e32 v4, s29
	s_sub_u32 s0, 0, s28
	s_subb_u32 s30, 0, s29
	v_fmac_f32_e32 v3, 0x4f800000, v4
	v_rcp_f32_e32 v3, v3
	v_mul_f32_e32 v3, 0x5f7ffffc, v3
	v_mul_f32_e32 v4, 0x2f800000, v3
	v_trunc_f32_e32 v4, v4
	v_fmac_f32_e32 v3, 0xcf800000, v4
	v_cvt_u32_f32_e32 v4, v4
	v_cvt_u32_f32_e32 v3, v3
	v_mul_lo_u32 v8, s0, v4
	v_mul_hi_u32 v11, s0, v3
	v_mul_lo_u32 v12, s30, v3
	v_add_nc_u32_e32 v8, v11, v8
	v_mul_lo_u32 v11, s0, v3
	v_add_nc_u32_e32 v8, v8, v12
	v_mul_hi_u32 v12, v3, v11
	v_mul_lo_u32 v13, v3, v8
	v_mul_hi_u32 v14, v3, v8
	v_mul_hi_u32 v15, v4, v11
	v_mul_lo_u32 v11, v4, v11
	v_mul_hi_u32 v16, v4, v8
	v_mul_lo_u32 v8, v4, v8
	v_add_co_u32 v12, vcc_lo, v12, v13
	v_add_co_ci_u32_e32 v13, vcc_lo, 0, v14, vcc_lo
	v_add_co_u32 v11, vcc_lo, v12, v11
	v_add_co_ci_u32_e32 v11, vcc_lo, v13, v15, vcc_lo
	v_add_co_ci_u32_e32 v12, vcc_lo, 0, v16, vcc_lo
	v_add_co_u32 v8, vcc_lo, v11, v8
	v_add_co_ci_u32_e32 v11, vcc_lo, 0, v12, vcc_lo
	v_add_co_u32 v3, vcc_lo, v3, v8
	v_add_co_ci_u32_e32 v4, vcc_lo, v4, v11, vcc_lo
	v_mul_hi_u32 v8, s0, v3
	v_mul_lo_u32 v12, s30, v3
	v_mul_lo_u32 v11, s0, v4
	v_add_nc_u32_e32 v8, v8, v11
	v_mul_lo_u32 v11, s0, v3
	v_add_nc_u32_e32 v8, v8, v12
	v_mul_hi_u32 v12, v3, v11
	v_mul_lo_u32 v13, v3, v8
	v_mul_hi_u32 v14, v3, v8
	v_mul_hi_u32 v15, v4, v11
	v_mul_lo_u32 v11, v4, v11
	v_mul_hi_u32 v16, v4, v8
	v_mul_lo_u32 v8, v4, v8
	v_add_co_u32 v12, vcc_lo, v12, v13
	v_add_co_ci_u32_e32 v13, vcc_lo, 0, v14, vcc_lo
	v_add_co_u32 v11, vcc_lo, v12, v11
	v_add_co_ci_u32_e32 v11, vcc_lo, v13, v15, vcc_lo
	v_add_co_ci_u32_e32 v12, vcc_lo, 0, v16, vcc_lo
	v_add_co_u32 v8, vcc_lo, v11, v8
	v_add_co_ci_u32_e32 v11, vcc_lo, 0, v12, vcc_lo
	v_add_co_u32 v8, vcc_lo, v3, v8
	v_add_co_ci_u32_e32 v13, vcc_lo, v4, v11, vcc_lo
	v_mul_hi_u32 v15, v9, v8
	v_mad_u64_u32 v[11:12], null, v10, v8, 0
	v_mad_u64_u32 v[3:4], null, v9, v13, 0
	v_mad_u64_u32 v[13:14], null, v10, v13, 0
	v_add_co_u32 v3, vcc_lo, v15, v3
	v_add_co_ci_u32_e32 v4, vcc_lo, 0, v4, vcc_lo
	v_add_co_u32 v3, vcc_lo, v3, v11
	v_add_co_ci_u32_e32 v3, vcc_lo, v4, v12, vcc_lo
	v_add_co_ci_u32_e32 v4, vcc_lo, 0, v14, vcc_lo
	v_add_co_u32 v8, vcc_lo, v3, v13
	v_add_co_ci_u32_e32 v11, vcc_lo, 0, v4, vcc_lo
	v_mul_lo_u32 v12, s29, v8
	v_mad_u64_u32 v[3:4], null, s28, v8, 0
	v_mul_lo_u32 v13, s28, v11
	v_sub_co_u32 v3, vcc_lo, v9, v3
	v_add3_u32 v4, v4, v13, v12
	v_sub_nc_u32_e32 v12, v10, v4
	v_subrev_co_ci_u32_e64 v12, s0, s29, v12, vcc_lo
	v_add_co_u32 v13, s0, v8, 2
	v_add_co_ci_u32_e64 v14, s0, 0, v11, s0
	v_sub_co_u32 v15, s0, v3, s28
	v_sub_co_ci_u32_e32 v4, vcc_lo, v10, v4, vcc_lo
	v_subrev_co_ci_u32_e64 v12, s0, 0, v12, s0
	v_cmp_le_u32_e32 vcc_lo, s28, v15
	v_cmp_eq_u32_e64 s0, s29, v4
	v_cndmask_b32_e64 v15, 0, -1, vcc_lo
	v_cmp_le_u32_e32 vcc_lo, s29, v12
	v_cndmask_b32_e64 v16, 0, -1, vcc_lo
	v_cmp_le_u32_e32 vcc_lo, s28, v3
	;; [unrolled: 2-line block ×3, first 2 shown]
	v_cndmask_b32_e64 v17, 0, -1, vcc_lo
	v_cmp_eq_u32_e32 vcc_lo, s29, v12
	v_cndmask_b32_e64 v3, v17, v3, s0
	v_cndmask_b32_e32 v12, v16, v15, vcc_lo
	v_add_co_u32 v15, vcc_lo, v8, 1
	v_add_co_ci_u32_e32 v16, vcc_lo, 0, v11, vcc_lo
	v_cmp_ne_u32_e32 vcc_lo, 0, v12
	v_cndmask_b32_e32 v4, v16, v14, vcc_lo
	v_cndmask_b32_e32 v12, v15, v13, vcc_lo
	v_cmp_ne_u32_e32 vcc_lo, 0, v3
	v_cndmask_b32_e32 v4, v11, v4, vcc_lo
	v_cndmask_b32_e32 v3, v8, v12, vcc_lo
.LBB0_4:                                ;   in Loop: Header=BB0_2 Depth=1
	s_andn2_saveexec_b32 s0, s1
	s_cbranch_execz .LBB0_6
; %bb.5:                                ;   in Loop: Header=BB0_2 Depth=1
	v_cvt_f32_u32_e32 v3, s28
	s_sub_i32 s1, 0, s28
	v_rcp_iflag_f32_e32 v3, v3
	v_mul_f32_e32 v3, 0x4f7ffffe, v3
	v_cvt_u32_f32_e32 v3, v3
	v_mul_lo_u32 v4, s1, v3
	v_mul_hi_u32 v4, v3, v4
	v_add_nc_u32_e32 v3, v3, v4
	v_mul_hi_u32 v3, v9, v3
	v_mul_lo_u32 v4, v3, s28
	v_add_nc_u32_e32 v8, 1, v3
	v_sub_nc_u32_e32 v4, v9, v4
	v_subrev_nc_u32_e32 v11, s28, v4
	v_cmp_le_u32_e32 vcc_lo, s28, v4
	v_cndmask_b32_e32 v4, v4, v11, vcc_lo
	v_cndmask_b32_e32 v3, v3, v8, vcc_lo
	v_cmp_le_u32_e32 vcc_lo, s28, v4
	v_add_nc_u32_e32 v8, 1, v3
	v_mov_b32_e32 v4, v7
	v_cndmask_b32_e32 v3, v3, v8, vcc_lo
.LBB0_6:                                ;   in Loop: Header=BB0_2 Depth=1
	s_or_b32 exec_lo, exec_lo, s0
	v_mul_lo_u32 v8, v4, s28
	v_mul_lo_u32 v13, v3, s29
	s_load_dwordx2 s[0:1], s[22:23], 0x0
	v_mad_u64_u32 v[11:12], null, v3, s28, 0
	s_load_dwordx2 s[28:29], s[6:7], 0x0
	s_add_u32 s26, s26, 1
	s_addc_u32 s27, s27, 0
	s_add_u32 s6, s6, 8
	s_addc_u32 s7, s7, 0
	s_add_u32 s22, s22, 8
	v_add3_u32 v8, v12, v13, v8
	v_sub_co_u32 v9, vcc_lo, v9, v11
	s_addc_u32 s23, s23, 0
	s_add_u32 s24, s24, 8
	v_sub_co_ci_u32_e32 v8, vcc_lo, v10, v8, vcc_lo
	s_addc_u32 s25, s25, 0
	s_waitcnt lgkmcnt(0)
	v_mul_lo_u32 v10, s0, v8
	v_mul_lo_u32 v11, s1, v9
	v_mad_u64_u32 v[5:6], null, s0, v9, v[5:6]
	v_mul_lo_u32 v8, s28, v8
	v_mul_lo_u32 v12, s29, v9
	v_mad_u64_u32 v[1:2], null, s28, v9, v[1:2]
	v_cmp_ge_u64_e64 s0, s[26:27], s[14:15]
	v_add3_u32 v6, v11, v6, v10
	v_add3_u32 v2, v12, v2, v8
	s_and_b32 vcc_lo, exec_lo, s0
	s_cbranch_vccnz .LBB0_9
; %bb.7:                                ;   in Loop: Header=BB0_2 Depth=1
	v_mov_b32_e32 v10, v4
	v_mov_b32_e32 v9, v3
	s_branch .LBB0_2
.LBB0_8:
	v_mov_b32_e32 v1, v5
	v_mov_b32_e32 v3, v9
	;; [unrolled: 1-line block ×4, first 2 shown]
.LBB0_9:
	s_load_dwordx2 s[0:1], s[4:5], 0x28
	v_mul_hi_u32 v7, 0x1681682, v0
	s_lshl_b64 s[6:7], s[14:15], 3
	v_mov_b32_e32 v9, 0
	v_mov_b32_e32 v13, 0
	s_add_u32 s4, s18, s6
	s_addc_u32 s5, s19, s7
                                        ; implicit-def: $vgpr23
                                        ; implicit-def: $vgpr36
                                        ; implicit-def: $vgpr22
                                        ; implicit-def: $vgpr35
                                        ; implicit-def: $vgpr21
                                        ; implicit-def: $vgpr34
                                        ; implicit-def: $vgpr20
                                        ; implicit-def: $vgpr33
                                        ; implicit-def: $vgpr19
                                        ; implicit-def: $vgpr32
                                        ; implicit-def: $vgpr18
                                        ; implicit-def: $vgpr12
                                        ; implicit-def: $vgpr17
                                        ; implicit-def: $vgpr16
                                        ; implicit-def: $vgpr37
                                        ; implicit-def: $vgpr15
                                        ; implicit-def: $vgpr38
                                        ; implicit-def: $vgpr10
                                        ; implicit-def: $vgpr40
                                        ; implicit-def: $vgpr8
                                        ; implicit-def: $vgpr41
                                        ; implicit-def: $vgpr11
                                        ; implicit-def: $vgpr39
	v_mul_u32_u24_e32 v7, 0xb6, v7
	v_sub_nc_u32_e32 v0, v0, v7
	s_waitcnt lgkmcnt(0)
	v_cmp_gt_u64_e32 vcc_lo, s[0:1], v[3:4]
	v_cmp_gt_u32_e64 s0, 0x7e, v0
	s_and_b32 s1, vcc_lo, s0
	s_and_saveexec_b32 s14, s1
	s_cbranch_execz .LBB0_11
; %bb.10:
	s_add_u32 s6, s16, s6
	s_addc_u32 s7, s17, s7
	v_add_nc_u32_e32 v20, 0x7e, v0
	s_load_dwordx2 s[6:7], s[6:7], 0x0
	v_add_nc_u32_e32 v22, 0xfc, v0
	v_mad_u64_u32 v[7:8], null, s20, v0, 0
	v_mad_u64_u32 v[9:10], null, s20, v20, 0
	v_add_nc_u32_e32 v23, 0x17a, v0
	v_mad_u64_u32 v[11:12], null, s20, v22, 0
	v_add_nc_u32_e32 v24, 0x1f8, v0
	v_lshlrev_b64 v[5:6], 2, v[5:6]
	v_mad_u64_u32 v[13:14], null, s20, v23, 0
	v_mad_u64_u32 v[17:18], null, s21, v0, v[8:9]
	v_mov_b32_e32 v8, v10
	v_mov_b32_e32 v10, v12
	v_mad_u64_u32 v[18:19], null, s20, v24, 0
	v_mov_b32_e32 v12, v14
	s_waitcnt lgkmcnt(0)
	v_mul_lo_u32 v21, s7, v3
	v_mul_lo_u32 v25, s6, v4
	v_mad_u64_u32 v[15:16], null, s6, v3, 0
	v_add_nc_u32_e32 v26, 0x3f0, v0
	v_add_nc_u32_e32 v29, 0x46e, v0
	;; [unrolled: 1-line block ×3, first 2 shown]
	v_add3_u32 v16, v16, v25, v21
	v_mad_u64_u32 v[20:21], null, s21, v20, v[8:9]
	v_mad_u64_u32 v[21:22], null, s21, v22, v[10:11]
	v_lshlrev_b64 v[14:15], 2, v[15:16]
	v_mov_b32_e32 v8, v17
	v_mad_u64_u32 v[16:17], null, s21, v23, v[12:13]
	v_mov_b32_e32 v10, v20
	v_add_nc_u32_e32 v22, 0x276, v0
	v_add_co_u32 v14, s1, s8, v14
	v_add_co_ci_u32_e64 v15, s1, s9, v15, s1
	v_mov_b32_e32 v12, v21
	v_add_co_u32 v39, s1, v14, v5
	v_lshlrev_b64 v[7:8], 2, v[7:8]
	v_add_co_ci_u32_e64 v40, s1, v15, v6, s1
	v_lshlrev_b64 v[5:6], 2, v[9:10]
	v_lshlrev_b64 v[10:11], 2, v[11:12]
	v_mov_b32_e32 v9, v19
	v_add_co_u32 v7, s1, v39, v7
	v_mov_b32_e32 v14, v16
	v_add_co_ci_u32_e64 v8, s1, v40, v8, s1
	v_mad_u64_u32 v[15:16], null, s21, v24, v[9:10]
	v_add_co_u32 v5, s1, v39, v5
	v_mad_u64_u32 v[16:17], null, s20, v22, 0
	v_add_nc_u32_e32 v24, 0x2f4, v0
	v_add_co_ci_u32_e64 v6, s1, v40, v6, s1
	v_add_co_u32 v9, s1, v39, v10
	v_add_nc_u32_e32 v25, 0x372, v0
	v_add_co_ci_u32_e64 v10, s1, v40, v11, s1
	v_lshlrev_b64 v[11:12], 2, v[13:14]
	v_mov_b32_e32 v19, v15
	v_mad_u64_u32 v[14:15], null, s20, v24, 0
	v_mov_b32_e32 v13, v17
	v_mad_u64_u32 v[20:21], null, s20, v25, 0
	v_lshlrev_b64 v[18:19], 2, v[18:19]
	v_add_co_u32 v11, s1, v39, v11
	v_mad_u64_u32 v[22:23], null, s21, v22, v[13:14]
	v_mov_b32_e32 v13, v15
	v_mov_b32_e32 v15, v21
	v_add_co_ci_u32_e64 v12, s1, v40, v12, s1
	v_add_co_u32 v18, s1, v39, v18
	v_mov_b32_e32 v17, v22
	v_mad_u64_u32 v[21:22], null, s21, v24, v[13:14]
	v_mad_u64_u32 v[22:23], null, s21, v25, v[15:16]
	v_lshlrev_b64 v[16:17], 2, v[16:17]
	v_add_co_ci_u32_e64 v19, s1, v40, v19, s1
	v_mad_u64_u32 v[24:25], null, s20, v29, 0
	v_mov_b32_e32 v15, v21
	v_mov_b32_e32 v21, v22
	v_mad_u64_u32 v[22:23], null, s20, v26, 0
	v_add_co_u32 v16, s1, v39, v16
	v_lshlrev_b64 v[13:14], 2, v[14:15]
	v_lshlrev_b64 v[20:21], 2, v[20:21]
	v_add_co_ci_u32_e64 v17, s1, v40, v17, s1
	v_mov_b32_e32 v15, v23
	v_add_co_u32 v13, s1, v39, v13
	v_add_co_ci_u32_e64 v14, s1, v40, v14, s1
	v_mad_u64_u32 v[26:27], null, s21, v26, v[15:16]
	v_mad_u64_u32 v[27:28], null, s20, v30, 0
	v_mov_b32_e32 v15, v25
	v_add_co_u32 v20, s1, v39, v20
	v_add_co_ci_u32_e64 v21, s1, v40, v21, s1
	v_mov_b32_e32 v23, v26
	v_mov_b32_e32 v25, v28
	v_add_nc_u32_e32 v26, 0x5e8, v0
	v_mad_u64_u32 v[28:29], null, s21, v29, v[15:16]
	v_add_nc_u32_e32 v15, 0x56a, v0
	s_clause 0x7
	global_load_dword v42, v[7:8], off
	global_load_dword v36, v[5:6], off
	;; [unrolled: 1-line block ×8, first 2 shown]
	v_mad_u64_u32 v[29:30], null, s21, v30, v[25:26]
	v_mad_u64_u32 v[37:38], null, s20, v26, 0
	;; [unrolled: 1-line block ×3, first 2 shown]
	v_lshlrev_b64 v[6:7], 2, v[22:23]
	v_mov_b32_e32 v25, v28
	v_mov_b32_e32 v28, v29
	;; [unrolled: 1-line block ×3, first 2 shown]
	v_mad_u64_u32 v[8:9], null, s21, v15, v[5:6]
	v_mov_b32_e32 v5, v38
	v_add_co_u32 v6, s1, v39, v6
	v_lshlrev_b64 v[9:10], 2, v[24:25]
	v_add_co_ci_u32_e64 v7, s1, v40, v7, s1
	v_mad_u64_u32 v[13:14], null, s21, v26, v[5:6]
	v_lshlrev_b64 v[14:15], 2, v[27:28]
	v_mov_b32_e32 v31, v8
	v_add_co_u32 v8, s1, v39, v9
	v_add_co_ci_u32_e64 v9, s1, v40, v10, s1
	v_mov_b32_e32 v38, v13
	v_lshlrev_b64 v[10:11], 2, v[30:31]
	v_add_co_u32 v13, s1, v39, v14
	v_add_co_ci_u32_e64 v14, s1, v40, v15, s1
	v_lshlrev_b64 v[15:16], 2, v[37:38]
	v_add_co_u32 v10, s1, v39, v10
	v_add_co_ci_u32_e64 v11, s1, v40, v11, s1
	v_add_co_u32 v15, s1, v39, v15
	v_add_co_ci_u32_e64 v16, s1, v40, v16, s1
	s_clause 0x4
	global_load_dword v37, v[6:7], off
	global_load_dword v38, v[8:9], off
	;; [unrolled: 1-line block ×5, first 2 shown]
	s_waitcnt vmcnt(12)
	v_lshrrev_b32_e32 v9, 16, v42
	s_waitcnt vmcnt(11)
	v_lshrrev_b32_e32 v23, 16, v36
	s_waitcnt vmcnt(10)
	v_lshrrev_b32_e32 v22, 16, v35
	s_waitcnt vmcnt(9)
	v_lshrrev_b32_e32 v21, 16, v34
	s_waitcnt vmcnt(8)
	v_lshrrev_b32_e32 v20, 16, v33
	s_waitcnt vmcnt(7)
	v_lshrrev_b32_e32 v19, 16, v32
	s_waitcnt vmcnt(6)
	v_lshrrev_b32_e32 v18, 16, v12
	s_waitcnt vmcnt(5)
	v_lshrrev_b32_e32 v17, 16, v43
	v_perm_b32 v13, v42, v43, 0x5040100
	s_waitcnt vmcnt(4)
	v_lshrrev_b32_e32 v16, 16, v37
	s_waitcnt vmcnt(3)
	v_lshrrev_b32_e32 v15, 16, v38
	;; [unrolled: 2-line block ×5, first 2 shown]
.LBB0_11:
	s_or_b32 exec_lo, exec_lo, s14
	v_sub_f16_e32 v55, v23, v8
	v_add_f16_e32 v59, v36, v41
	v_sub_f16_e32 v53, v22, v10
	v_add_f16_e32 v60, v35, v40
	v_sub_f16_e32 v54, v21, v11
	v_mul_f16_e32 v28, 0xbbf1, v55
	v_add_f16_e32 v56, v34, v39
	v_mul_f16_e32 v27, 0xb3a8, v53
	v_sub_f16_e32 v51, v20, v15
	v_mul_f16_e32 v25, 0x3b7b, v54
	v_fma_f16 v5, v59, 0x2fb7, -v28
	v_add_f16_e32 v57, v33, v38
	v_fma_f16 v6, v60, 0xbbc4, -v27
	v_sub_f16_e32 v52, v19, v16
	v_mul_f16_e32 v24, 0x3770, v51
	v_add_f16_sdwa v7, v13, v5 dst_sel:DWORD dst_unused:UNUSED_PAD src0_sel:WORD_1 src1_sel:DWORD
	v_pk_mul_f16 v43, 0xb770ba95, v55 op_sel_hi:[1,0]
	v_fma_f16 v14, v56, 0xb5ac, -v25
	v_add_f16_e32 v58, v32, v37
	v_mul_f16_e32 v5, 0xba95, v52
	v_add_f16_e32 v6, v6, v7
	v_pk_mul_f16 v31, 0xba95bb7b, v53 op_sel_hi:[1,0]
	v_fma_f16 v7, v57, 0x3b15, -v24
	v_pk_fma_f16 v29, 0x3b15388b, v59, v43 op_sel_hi:[1,0,1] neg_lo:[0,0,1] neg_hi:[0,0,1]
	v_pk_mul_f16 v30, 0xbb7bb94e, v55 op_sel_hi:[1,0]
	v_add_f16_e32 v6, v6, v14
	v_fma_f16 v14, v58, 0x388b, -v5
	v_pk_fma_f16 v44, 0x388bb5ac, v60, v31 op_sel_hi:[1,0,1] neg_lo:[0,0,1] neg_hi:[0,0,1]
	v_pk_add_f16 v29, v13, v29 op_sel:[1,0]
	v_pk_mul_f16 v42, 0x394e3bf1, v53 op_sel_hi:[1,0]
	v_add_f16_e32 v6, v7, v6
	v_pk_fma_f16 v7, 0xb5acb9fd, v59, v30 op_sel_hi:[1,0,1] neg_lo:[0,0,1] neg_hi:[0,0,1]
	v_pk_mul_f16 v26, 0xbbf1b3a8, v54 op_sel_hi:[1,0]
	v_pk_add_f16 v46, v44, v29
	v_pk_mul_f16 v44, 0x3770ba95, v54 op_sel_hi:[1,0]
	v_add_f16_e32 v14, v14, v6
	v_pk_add_f16 v6, v13, v7 op_sel:[1,0]
	v_pk_fma_f16 v7, 0xb9fd2fb7, v60, v42 op_sel_hi:[1,0,1] neg_lo:[0,0,1] neg_hi:[0,0,1]
	v_pk_fma_f16 v45, 0x2fb7bbc4, v56, v26 op_sel_hi:[1,0,1] neg_lo:[0,0,1] neg_hi:[0,0,1]
	v_pk_mul_f16 v29, 0xbb7b394e, v51 op_sel_hi:[1,0]
	v_pk_mul_f16 v47, 0xbbf133a8, v51 op_sel_hi:[1,0]
	v_sub_f16_e32 v62, v18, v17
	v_pk_add_f16 v6, v7, v6
	v_pk_fma_f16 v7, 0x3b15388b, v56, v44 op_sel_hi:[1,0,1] neg_lo:[0,0,1] neg_hi:[0,0,1]
	v_pk_add_f16 v46, v46, v45
	v_pk_fma_f16 v48, 0xb5acb9fd, v57, v29 op_sel_hi:[1,0,1] neg_lo:[0,0,1] neg_hi:[0,0,1]
	v_pk_mul_f16 v45, 0xb94e3bf1, v52 op_sel_hi:[1,0]
	v_pk_mul_f16 v49, 0x33a83770, v52 op_sel_hi:[1,0]
	v_pk_add_f16 v6, v6, v7
	v_pk_fma_f16 v7, 0x2fb7bbc4, v57, v47 op_sel_hi:[1,0,1] neg_lo:[0,0,1] neg_hi:[0,0,1]
	v_add_f16_e32 v61, v12, v13
	v_pk_add_f16 v63, v48, v46
	v_pk_fma_f16 v64, 0xb9fd2fb7, v58, v45 op_sel_hi:[1,0,1] neg_lo:[0,0,1] neg_hi:[0,0,1]
	v_pk_mul_f16 v46, 0xb3a83770, v62 op_sel_hi:[1,0]
	v_mul_f16_e32 v48, 0xb94e, v62
	v_pk_add_f16 v6, v7, v6
	v_pk_fma_f16 v7, 0xbbc43b15, v58, v49 op_sel_hi:[1,0,1] neg_lo:[0,0,1] neg_hi:[0,0,1]
	v_pk_mul_f16 v50, 0x3a95bb7b, v62 op_sel_hi:[1,0]
	v_pk_add_f16 v63, v64, v63
	v_pk_fma_f16 v64, 0xbbc43b15, v61, v46 op_sel_hi:[1,0,1] neg_lo:[0,0,1] neg_hi:[0,0,1]
	v_fma_f16 v65, v61, 0xb9fd, -v48
	v_pk_add_f16 v66, v7, v6
	v_pk_fma_f16 v67, 0x388bb5ac, v61, v50 op_sel_hi:[1,0,1] neg_lo:[0,0,1] neg_hi:[0,0,1]
	v_pk_add_f16 v6, v64, v63
	v_add_f16_e32 v7, v65, v14
	v_pk_add_f16 v14, v67, v66
	s_and_saveexec_b32 s1, s0
	s_cbranch_execz .LBB0_13
; %bb.12:
	v_mul_f16_e32 v73, 0xbbc4, v59
	v_mul_f16_e32 v64, 0xbbc4, v60
	v_pk_mul_f16 v70, 0x388bb5ac, v60 op_sel_hi:[1,0]
	v_pk_mul_f16 v78, 0xb9fd2fb7, v60 op_sel_hi:[1,0]
	v_mul_f16_e32 v60, 0x3b15, v60
	v_fmamk_f16 v77, v55, 0x33a8, v73
	v_add_f16_sdwa v81, v13, v36 dst_sel:DWORD dst_unused:UNUSED_PAD src0_sel:WORD_1 src1_sel:DWORD
	v_mul_f16_e32 v65, 0xb5ac, v56
	v_pk_mul_f16 v71, 0x2fb7bbc4, v56 op_sel_hi:[1,0]
	v_pk_mul_f16 v79, 0x3b15388b, v56 op_sel_hi:[1,0]
	v_add_f16_sdwa v77, v13, v77 dst_sel:DWORD dst_unused:UNUSED_PAD src0_sel:WORD_1 src1_sel:DWORD
	v_fmamk_f16 v82, v53, 0xb770, v60
	v_mul_f16_e32 v56, 0xb9fd, v56
	v_fmac_f16_e32 v73, 0xb3a8, v55
	v_add_f16_e32 v55, v81, v35
	v_mul_f16_e32 v66, 0x3b15, v57
	v_pk_mul_f16 v72, 0xb5acb9fd, v57 op_sel_hi:[1,0]
	v_pk_mul_f16 v80, 0x2fb7bbc4, v57 op_sel_hi:[1,0]
	v_add_f16_e32 v77, v82, v77
	v_fmamk_f16 v81, v54, 0x394e, v56
	v_mul_f16_e32 v57, 0x388b, v57
	v_add_f16_e32 v55, v55, v34
	v_mul_f16_e32 v67, 0x388b, v58
	v_pk_mul_f16 v74, 0xb9fd2fb7, v58 op_sel_hi:[1,0]
	v_pk_mul_f16 v83, 0xbbc43b15, v58 op_sel_hi:[1,0]
	v_fmac_f16_e32 v60, 0x3770, v53
	v_add_f16_e32 v53, v77, v81
	v_fmamk_f16 v77, v51, 0xba95, v57
	v_mul_f16_e32 v58, 0xb5ac, v58
	v_add_f16_e32 v55, v55, v33
	v_mul_f16_e32 v63, 0x2fb7, v59
	v_pk_mul_f16 v68, 0x3b15388b, v59 op_sel_hi:[1,0]
	v_add_f16_sdwa v73, v13, v73 dst_sel:DWORD dst_unused:UNUSED_PAD src0_sel:WORD_1 src1_sel:DWORD
	v_fmac_f16_e32 v56, 0xb94e, v54
	v_add_f16_e32 v53, v77, v53
	v_fmamk_f16 v54, v52, 0x3b7b, v58
	v_add_f16_e32 v55, v55, v32
	v_pk_mul_f16 v59, 0xb5acb9fd, v59 op_sel_hi:[1,0]
	v_add_f16_e32 v60, v60, v73
	v_mul_f16_e32 v73, 0x2fb7, v61
	v_add_f16_e32 v53, v54, v53
	v_bfi_b32 v54, 0xffff, v55, v43
	v_bfi_b32 v55, 0xffff, v12, v68
	v_perm_b32 v28, v28, v43, 0x5040100
	v_perm_b32 v43, v63, v68, 0x5040100
	;; [unrolled: 1-line block ×3, first 2 shown]
	v_fmamk_f16 v51, v51, 0x3a95, v57
	v_fmamk_f16 v57, v62, 0xbbf1, v73
	v_pk_add_f16 v54, v54, v55
	v_pk_add_f16 v55, v31, v70
	;; [unrolled: 1-line block ×3, first 2 shown]
	v_perm_b32 v27, v27, v31, 0x5040100
	v_perm_b32 v31, v64, v70, 0x5040100
	v_pk_add_f16 v30, v30, v59
	v_add_f16_e32 v53, v57, v53
	v_pk_add_f16 v57, v26, v71
	v_pk_add_f16 v28, v69, v28
	;; [unrolled: 1-line block ×3, first 2 shown]
	v_perm_b32 v25, v25, v26, 0x5040100
	v_perm_b32 v26, v65, v71, 0x5040100
	v_pk_add_f16 v30, v69, v30
	v_pk_add_f16 v31, v42, v78
	;; [unrolled: 1-line block ×3, first 2 shown]
	v_bfi_b32 v55, 0xffff, v37, v55
	v_pk_add_f16 v27, v27, v28
	v_pk_add_f16 v25, v25, v26
	;; [unrolled: 1-line block ×4, first 2 shown]
	v_add_f16_e32 v56, v60, v56
	v_fmamk_f16 v52, v52, 0xbb7b, v58
	v_pk_add_f16 v58, v29, v72
	v_pk_add_f16 v54, v54, v55
	v_bfi_b32 v55, 0xffff, v38, v57
	v_perm_b32 v24, v24, v29, 0x5040100
	v_perm_b32 v29, v66, v72, 0x5040100
	v_pk_add_f16 v25, v27, v25
	v_pk_add_f16 v26, v26, v28
	;; [unrolled: 1-line block ×3, first 2 shown]
	v_pk_mul_f16 v75, 0xbbc43b15, v61 op_sel_hi:[1,0]
	v_mul_f16_e32 v76, 0xb9fd, v61
	v_add_f16_e32 v51, v51, v56
	v_pk_mul_f16 v56, 0x388bb5ac, v61 op_sel_hi:[1,0]
	v_pk_add_f16 v57, v45, v74
	v_pk_add_f16 v43, v54, v55
	v_bfi_b32 v54, 0xffff, v39, v58
	v_pk_add_f16 v24, v24, v29
	v_perm_b32 v5, v5, v45, 0x5040100
	v_perm_b32 v28, v67, v74, 0x5040100
	v_pk_add_f16 v26, v27, v26
	v_pk_add_f16 v27, v49, v83
	v_add_f16_e32 v51, v52, v51
	v_fmamk_f16 v52, v62, 0x3bf1, v73
	v_pk_add_f16 v42, v46, v75
	v_pk_add_f16 v43, v43, v54
	v_bfi_b32 v30, 0xffff, v40, v57
	v_pk_add_f16 v24, v24, v25
	v_pk_add_f16 v5, v5, v28
	v_perm_b32 v25, v48, v46, 0x5040100
	v_perm_b32 v28, v76, v75, 0x5040100
	v_pk_add_f16 v26, v27, v26
	v_pk_add_f16 v27, v50, v56
	;; [unrolled: 1-line block ×3, first 2 shown]
	v_bfi_b32 v30, 0xffff, v41, v42
	v_pk_add_f16 v5, v5, v24
	v_pk_add_f16 v25, v25, v28
	v_add_f16_e32 v28, v52, v51
	v_pk_add_f16 v26, v27, v26
	v_mad_u32_u24 v31, v0, 26, 0
	v_pk_add_f16 v24, v30, v29
	v_pk_add_f16 v25, v25, v5
	v_pack_b32_f16 v27, v28, v53
	v_alignbit_b32 v26, v26, v26, 16
	ds_write_b128 v31, v[24:27]
	ds_write_b32 v31, v14 offset:16
	ds_write_b16 v31, v7 offset:20
	ds_write_b32 v31, v6 offset:22
.LBB0_13:
	s_or_b32 exec_lo, exec_lo, s1
	v_lshl_add_u32 v5, v0, 1, 0
	s_waitcnt lgkmcnt(0)
	s_barrier
	buffer_gl0_inv
	v_cmp_gt_u32_e64 s1, 0x5b, v0
	ds_read_u16 v28, v5
	ds_read_u16 v29, v5 offset:364
	ds_read_u16 v30, v5 offset:728
	;; [unrolled: 1-line block ×7, first 2 shown]
	s_and_saveexec_b32 s6, s1
	s_cbranch_execz .LBB0_15
; %bb.14:
	ds_read_u16 v14, v5 offset:1456
	s_waitcnt lgkmcnt(0)
	ds_read_u16_d16_hi v14, v5 offset:3094
.LBB0_15:
	s_or_b32 exec_lo, exec_lo, s6
	v_sub_f16_e32 v62, v36, v41
	v_add_f16_e32 v43, v23, v8
	v_sub_f16_e32 v59, v35, v40
	v_add_f16_e32 v45, v22, v10
	v_sub_f16_e32 v60, v34, v39
	v_mul_f16_e32 v40, 0xbbf1, v62
	v_sub_f16_e32 v58, v33, v38
	v_mul_f16_e32 v36, 0xb3a8, v59
	v_add_f16_e32 v46, v21, v11
	v_sub_f16_e32 v61, v32, v37
	v_fmamk_f16 v33, v43, 0x2fb7, v40
	v_mul_f16_e32 v35, 0x3b7b, v60
	v_fmamk_f16 v32, v45, 0xbbc4, v36
	v_add_f16_e32 v41, v20, v15
	v_mul_f16_e32 v34, 0x3770, v58
	v_add_f16_e32 v37, v9, v33
	v_pk_mul_f16 v57, 0xb770ba95, v62 op_sel_hi:[1,0]
	v_fmamk_f16 v38, v46, 0xb5ac, v35
	v_add_f16_e32 v39, v19, v16
	v_mul_f16_e32 v33, 0xba95, v61
	v_add_f16_e32 v32, v32, v37
	v_pk_mul_f16 v56, 0xba95bb7b, v59 op_sel_hi:[1,0]
	v_fmamk_f16 v37, v41, 0x3b15, v34
	v_pk_fma_f16 v42, 0x3b15388b, v43, v57 op_sel_hi:[1,0,1]
	v_pk_mul_f16 v49, 0xbb7bb94e, v62 op_sel_hi:[1,0]
	v_add_f16_e32 v32, v32, v38
	v_pk_mul_f16 v54, 0xbbf1b3a8, v60 op_sel_hi:[1,0]
	v_fmamk_f16 v38, v39, 0x388b, v33
	v_pk_fma_f16 v44, 0x388bb5ac, v45, v56 op_sel_hi:[1,0,1]
	v_pk_add_f16 v42, v9, v42 op_sel_hi:[0,1]
	v_add_f16_e32 v32, v37, v32
	v_pk_mul_f16 v50, 0x394e3bf1, v59 op_sel_hi:[1,0]
	v_pk_fma_f16 v37, 0xb5acb9fd, v43, v49 op_sel_hi:[1,0,1]
	v_pk_fma_f16 v47, 0x2fb7bbc4, v46, v54 op_sel_hi:[1,0,1]
	v_pk_add_f16 v42, v44, v42
	v_add_f16_e32 v32, v38, v32
	v_pk_mul_f16 v55, 0xbb7b394e, v58 op_sel_hi:[1,0]
	v_pk_add_f16 v38, v9, v37 op_sel_hi:[0,1]
	v_pk_fma_f16 v44, 0xb9fd2fb7, v45, v50 op_sel_hi:[1,0,1]
	v_pk_mul_f16 v52, 0x3770ba95, v60 op_sel_hi:[1,0]
	v_pk_add_f16 v42, v42, v47
	v_pk_fma_f16 v47, 0xb5acb9fd, v41, v55 op_sel_hi:[1,0,1]
	v_pk_mul_f16 v51, 0xbbf133a8, v58 op_sel_hi:[1,0]
	v_pk_add_f16 v44, v44, v38
	v_pk_fma_f16 v48, 0x3b15388b, v46, v52 op_sel_hi:[1,0,1]
	v_sub_f16_e32 v38, v12, v13
	v_pk_mul_f16 v53, 0xb94e3bf1, v61 op_sel_hi:[1,0]
	v_pk_add_f16 v12, v47, v42
	v_pk_fma_f16 v42, 0x2fb7bbc4, v41, v51 op_sel_hi:[1,0,1]
	v_pk_add_f16 v13, v44, v48
	v_pk_mul_f16 v48, 0x33a83770, v61 op_sel_hi:[1,0]
	v_add_f16_e32 v37, v18, v17
	v_pk_fma_f16 v63, 0xb9fd2fb7, v39, v53 op_sel_hi:[1,0,1]
	v_pk_mul_f16 v44, 0xb3a83770, v38 op_sel_hi:[1,0]
	v_mul_f16_e32 v47, 0xb94e, v38
	v_pk_add_f16 v13, v42, v13
	v_pk_fma_f16 v64, 0xbbc43b15, v39, v48 op_sel_hi:[1,0,1]
	v_pk_mul_f16 v42, 0x3a95bb7b, v38 op_sel_hi:[1,0]
	v_pk_add_f16 v12, v63, v12
	v_pk_fma_f16 v63, 0xbbc43b15, v37, v44 op_sel_hi:[1,0,1]
	v_fmamk_f16 v65, v37, 0xb9fd, v47
	v_pk_add_f16 v64, v64, v13
	v_pk_fma_f16 v66, 0x388bb5ac, v37, v42 op_sel_hi:[1,0,1]
	s_waitcnt lgkmcnt(0)
	v_pk_add_f16 v12, v63, v12
	v_add_f16_e32 v13, v65, v32
	s_barrier
	v_pk_add_f16 v32, v66, v64
	buffer_gl0_inv
	s_and_saveexec_b32 s6, s0
	s_cbranch_execz .LBB0_17
; %bb.16:
	v_add_f16_e32 v23, v9, v23
	v_mul_f16_e32 v62, 0xb3a8, v62
	v_mul_f16_e32 v63, 0x2fb7, v43
	;; [unrolled: 1-line block ×3, first 2 shown]
	v_pk_mul_f16 v67, 0x3b15388b, v43 op_sel_hi:[1,0]
	v_add_f16_e32 v22, v23, v22
	v_pk_mul_f16 v69, 0x388bb5ac, v45 op_sel_hi:[1,0]
	v_pk_mul_f16 v73, 0xb5acb9fd, v43 op_sel_hi:[1,0]
	;; [unrolled: 1-line block ×3, first 2 shown]
	v_perm_b32 v68, v9, v9, 0x5040100
	v_add_f16_e32 v21, v22, v21
	v_mul_f16_e32 v58, 0x3a95, v58
	v_pk_mul_f16 v22, 0x2fb7bbc4, v46 op_sel_hi:[1,0]
	v_mul_f16_e32 v65, 0xb5ac, v46
	v_pk_mul_f16 v75, 0x3b15388b, v46 op_sel_hi:[1,0]
	v_add_f16_e32 v20, v21, v20
	v_mul_f16_e32 v66, 0x3b15, v41
	v_bfi_b32 v35, 0xffff, v35, v52
	v_mul_f16_e32 v23, 0x388b, v39
	v_pk_mul_f16 v70, 0xb5acb9fd, v41 op_sel_hi:[1,0]
	v_add_f16_e32 v19, v20, v19
	v_pk_mul_f16 v20, 0x2fb7bbc4, v41 op_sel_hi:[1,0]
	v_pk_mul_f16 v76, 0xbbc43b15, v39 op_sel_hi:[1,0]
	v_bfi_b32 v34, 0xffff, v34, v51
	v_pk_mul_f16 v71, 0xb9fd2fb7, v39 op_sel_hi:[1,0]
	v_add_f16_e32 v18, v19, v18
	v_mul_f16_e32 v19, 0x3770, v59
	v_mul_f16_e32 v59, 0xb94e, v60
	;; [unrolled: 1-line block ×4, first 2 shown]
	v_add_f16_e32 v17, v18, v17
	v_fma_f16 v18, v43, 0xbbc4, -v62
	v_fmac_f16_e32 v62, 0xbbc4, v43
	v_fma_f16 v43, v45, 0x3b15, -v19
	v_fmac_f16_e32 v19, 0x3b15, v45
	v_add_f16_e32 v16, v17, v16
	v_add_f16_e32 v18, v9, v18
	;; [unrolled: 1-line block ×3, first 2 shown]
	v_fma_f16 v17, v46, 0xb9fd, -v59
	v_fmac_f16_e32 v59, 0xb9fd, v46
	v_add_f16_e32 v15, v16, v15
	v_add_f16_e32 v18, v43, v18
	;; [unrolled: 1-line block ×3, first 2 shown]
	v_pk_add_f16 v43, v67, v57 neg_lo:[0,1] neg_hi:[0,1]
	v_fma_f16 v16, v41, 0x388b, -v58
	v_add_f16_e32 v11, v15, v11
	v_fmac_f16_e32 v58, 0x388b, v41
	v_add_f16_e32 v15, v18, v17
	v_add_f16_e32 v17, v19, v59
	v_pk_add_f16 v18, v68, v43
	v_add_f16_e32 v10, v10, v11
	v_pk_add_f16 v11, v69, v56 neg_lo:[0,1] neg_hi:[0,1]
	v_add_f16_e32 v15, v16, v15
	v_add_f16_e32 v16, v58, v17
	v_fma_f16 v17, v39, 0xb5ac, -v60
	v_bfi_b32 v19, 0xffff, v63, v73
	v_pk_add_f16 v11, v11, v18
	v_pk_add_f16 v18, v22, v54 neg_lo:[0,1] neg_hi:[0,1]
	v_bfi_b32 v22, 0xffff, v40, v49
	v_add_f16_e32 v15, v17, v15
	v_sub_f16_e32 v17, v73, v49
	v_pk_mul_f16 v77, 0x388bb5ac, v37 op_sel_hi:[1,0]
	v_pk_add_f16 v11, v11, v18
	v_pk_add_f16 v18, v19, v22 neg_lo:[0,1] neg_hi:[0,1]
	v_bfi_b32 v19, 0xffff, v64, v74
	v_bfi_b32 v22, 0xffff, v36, v50
	v_add_f16_e32 v9, v9, v17
	v_sub_f16_e32 v17, v74, v50
	v_pk_add_f16 v18, v68, v18
	v_pk_add_f16 v36, v70, v55 neg_lo:[0,1] neg_hi:[0,1]
	v_pk_add_f16 v19, v19, v22 neg_lo:[0,1] neg_hi:[0,1]
	v_bfi_b32 v22, 0xffff, v65, v75
	v_add_f16_e32 v9, v17, v9
	v_sub_f16_e32 v17, v75, v52
	v_pk_mul_f16 v72, 0xbbc43b15, v37 op_sel_hi:[1,0]
	v_pk_add_f16 v18, v19, v18
	v_pk_add_f16 v19, v22, v35 neg_lo:[0,1] neg_hi:[0,1]
	v_bfi_b32 v22, 0xffff, v66, v20
	v_add_f16_e32 v9, v9, v17
	v_sub_f16_e32 v17, v20, v51
	v_bfi_b32 v20, 0xffff, v23, v76
	v_pk_add_f16 v18, v18, v19
	v_pk_add_f16 v19, v22, v34 neg_lo:[0,1] neg_hi:[0,1]
	v_bfi_b32 v22, 0xffff, v33, v48
	v_fmac_f16_e32 v60, 0xb5ac, v39
	v_pk_add_f16 v11, v36, v11
	v_pk_add_f16 v35, v71, v53 neg_lo:[0,1] neg_hi:[0,1]
	v_add_f16_e32 v9, v17, v9
	v_sub_f16_e32 v17, v76, v48
	v_pk_add_f16 v18, v19, v18
	v_pk_add_f16 v19, v20, v22 neg_lo:[0,1] neg_hi:[0,1]
	v_bfi_b32 v20, 0xffff, v21, v77
	v_bfi_b32 v21, 0xffff, v47, v42
	v_mul_f16_e32 v23, 0x3bf1, v38
	v_add_f16_e32 v16, v60, v16
	v_pk_add_f16 v11, v35, v11
	v_pk_add_f16 v22, v72, v44 neg_lo:[0,1] neg_hi:[0,1]
	v_add_f16_e32 v9, v17, v9
	v_pk_add_f16 v17, v19, v18
	v_pk_add_f16 v18, v20, v21 neg_lo:[0,1] neg_hi:[0,1]
	v_sub_f16_e32 v19, v77, v42
	v_fma_f16 v20, v37, 0x2fb7, -v23
	v_fmac_f16_e32 v23, 0x2fb7, v37
	v_pk_add_f16 v21, v22, v11
	v_pk_add_f16 v11, v18, v17
	v_add_f16_e32 v9, v19, v9
	v_add_f16_e32 v15, v20, v15
	;; [unrolled: 1-line block ×4, first 2 shown]
	v_mad_u32_u24 v17, v0, 24, v5
	v_alignbit_b32 v10, v9, v11, 16
	v_pack_b32_f16 v9, v21, v11
	v_pack_b32_f16 v11, v15, v16
	v_bfi_b32 v8, 0xffff, v8, v21
	ds_write_b128 v17, v[8:11]
	ds_write_b32 v17, v32 offset:16
	ds_write_b16 v17, v13 offset:20
	ds_write_b32 v17, v12 offset:22
.LBB0_17:
	s_or_b32 exec_lo, exec_lo, s6
	s_waitcnt lgkmcnt(0)
	s_barrier
	buffer_gl0_inv
	ds_read_u16 v16, v5
	ds_read_u16 v18, v5 offset:364
	ds_read_u16 v19, v5 offset:728
	;; [unrolled: 1-line block ×7, first 2 shown]
	s_and_saveexec_b32 s0, s1
	s_cbranch_execz .LBB0_19
; %bb.18:
	ds_read_u16 v32, v5 offset:1456
	s_waitcnt lgkmcnt(0)
	ds_read_u16_d16_hi v32, v5 offset:3094
.LBB0_19:
	s_or_b32 exec_lo, exec_lo, s0
	v_and_b32_e32 v10, 0xff, v0
	v_add_nc_u32_e32 v8, 0xb6, v0
	v_mov_b32_e32 v15, 0x4ec5
	v_add_nc_u32_e32 v9, 0x16c, v0
	v_add_nc_u32_e32 v11, 0x222, v0
	v_mul_lo_u16 v17, 0x4f, v10
	v_add_nc_u32_e32 v10, 0x2d8, v0
	v_mul_u32_u24_sdwa v34, v8, v15 dst_sel:DWORD dst_unused:UNUSED_PAD src0_sel:WORD_0 src1_sel:DWORD
	v_mul_u32_u24_sdwa v35, v9, v15 dst_sel:DWORD dst_unused:UNUSED_PAD src0_sel:WORD_0 src1_sel:DWORD
	;; [unrolled: 1-line block ×3, first 2 shown]
	v_lshrrev_b16 v42, 10, v17
	v_mul_u32_u24_sdwa v15, v10, v15 dst_sel:DWORD dst_unused:UNUSED_PAD src0_sel:WORD_0 src1_sel:DWORD
	v_lshrrev_b32_e32 v43, 18, v34
	v_lshrrev_b32_e32 v44, 18, v35
	;; [unrolled: 1-line block ×3, first 2 shown]
	v_mul_lo_u16 v34, v42, 13
	v_lshrrev_b32_e32 v15, 18, v15
	v_mul_lo_u16 v35, v43, 13
	v_mul_lo_u16 v37, v44, 13
	;; [unrolled: 1-line block ×3, first 2 shown]
	v_sub_nc_u16 v45, v0, v34
	v_mul_lo_u16 v34, v15, 13
	v_mov_b32_e32 v39, 2
	v_sub_nc_u16 v48, v8, v35
	v_sub_nc_u16 v49, v9, v37
	;; [unrolled: 1-line block ×4, first 2 shown]
	v_lshlrev_b32_sdwa v35, v39, v45 dst_sel:DWORD dst_unused:UNUSED_PAD src0_sel:DWORD src1_sel:BYTE_0
	v_lshlrev_b32_sdwa v37, v39, v48 dst_sel:DWORD dst_unused:UNUSED_PAD src0_sel:DWORD src1_sel:WORD_0
	v_lshlrev_b32_sdwa v38, v39, v49 dst_sel:DWORD dst_unused:UNUSED_PAD src0_sel:DWORD src1_sel:WORD_0
	;; [unrolled: 1-line block ×4, first 2 shown]
	s_clause 0x4
	global_load_dword v40, v35, s[12:13]
	global_load_dword v41, v37, s[12:13]
	;; [unrolled: 1-line block ×5, first 2 shown]
	v_mov_b32_e32 v51, 52
	v_mov_b32_e32 v47, 1
	v_mul_u32_u24_e32 v52, 52, v36
	v_mul_lo_u16 v36, v15, 26
	v_mul_u32_u24_e32 v43, 52, v43
	v_mul_u32_u24_sdwa v42, v42, v51 dst_sel:DWORD dst_unused:UNUSED_PAD src0_sel:WORD_0 src1_sel:DWORD
	v_lshlrev_b32_sdwa v15, v47, v45 dst_sel:DWORD dst_unused:UNUSED_PAD src0_sel:DWORD src1_sel:BYTE_0
	v_mul_u32_u24_e32 v51, 52, v44
	v_lshlrev_b32_sdwa v44, v47, v48 dst_sel:DWORD dst_unused:UNUSED_PAD src0_sel:DWORD src1_sel:WORD_0
	v_lshlrev_b32_sdwa v48, v47, v49 dst_sel:DWORD dst_unused:UNUSED_PAD src0_sel:DWORD src1_sel:WORD_0
	;; [unrolled: 1-line block ×3, first 2 shown]
	s_load_dwordx2 s[4:5], s[4:5], 0x0
	s_waitcnt lgkmcnt(0)
	v_lshrrev_b32_e32 v37, 16, v32
	v_add3_u32 v45, 0, v42, v15
	v_add3_u32 v44, 0, v43, v44
	;; [unrolled: 1-line block ×4, first 2 shown]
	v_lshrrev_b32_e32 v46, 16, v14
	s_waitcnt vmcnt(0)
	s_barrier
	buffer_gl0_inv
	v_mul_f16_sdwa v15, v33, v40 dst_sel:DWORD dst_unused:UNUSED_PAD src0_sel:DWORD src1_sel:WORD_1
	v_mul_f16_sdwa v48, v23, v41 dst_sel:DWORD dst_unused:UNUSED_PAD src0_sel:DWORD src1_sel:WORD_1
	;; [unrolled: 1-line block ×5, first 2 shown]
	v_fmac_f16_e32 v15, v27, v40
	v_fmac_f16_e32 v48, v26, v41
	;; [unrolled: 1-line block ×5, first 2 shown]
	v_sub_f16_e32 v52, v28, v15
	v_sub_f16_e32 v48, v29, v48
	;; [unrolled: 1-line block ×5, first 2 shown]
	v_fma_f16 v28, v28, 2.0, -v52
	v_fma_f16 v29, v29, 2.0, -v48
	;; [unrolled: 1-line block ×4, first 2 shown]
	ds_write_b16 v45, v52 offset:26
	ds_write_b16 v45, v28
	ds_write_b16 v44, v29
	ds_write_b16 v44, v48 offset:26
	ds_write_b16 v43, v30
	ds_write_b16 v43, v49 offset:26
	;; [unrolled: 2-line block ×3, first 2 shown]
	s_and_saveexec_b32 s0, s1
	s_cbranch_execz .LBB0_21
; %bb.20:
	v_lshlrev_b32_sdwa v28, v47, v34 dst_sel:DWORD dst_unused:UNUSED_PAD src0_sel:DWORD src1_sel:WORD_0
	v_lshlrev_b32_sdwa v29, v47, v36 dst_sel:DWORD dst_unused:UNUSED_PAD src0_sel:DWORD src1_sel:WORD_0
	v_fma_f16 v14, v14, 2.0, -v15
	v_add3_u32 v28, 0, v28, v29
	ds_write_b16 v28, v14
	ds_write_b16 v28, v15 offset:26
.LBB0_21:
	s_or_b32 exec_lo, exec_lo, s0
	v_mul_f16_sdwa v14, v27, v40 dst_sel:DWORD dst_unused:UNUSED_PAD src0_sel:DWORD src1_sel:WORD_1
	v_mul_f16_sdwa v26, v26, v41 dst_sel:DWORD dst_unused:UNUSED_PAD src0_sel:DWORD src1_sel:WORD_1
	;; [unrolled: 1-line block ×4, first 2 shown]
	s_waitcnt lgkmcnt(0)
	v_fma_f16 v14, v33, v40, -v14
	v_fma_f16 v23, v23, v41, -v26
	;; [unrolled: 1-line block ×4, first 2 shown]
	s_barrier
	v_sub_f16_e32 v33, v16, v14
	v_sub_f16_e32 v38, v18, v23
	buffer_gl0_inv
	ds_read_u16 v22, v5
	ds_read_u16 v20, v5 offset:364
	ds_read_u16 v24, v5 offset:1456
	;; [unrolled: 1-line block ×8, first 2 shown]
	v_mul_f16_sdwa v29, v46, v35 dst_sel:DWORD dst_unused:UNUSED_PAD src0_sel:DWORD src1_sel:WORD_1
	v_sub_f16_e32 v30, v19, v30
	v_sub_f16_e32 v31, v21, v31
	v_fma_f16 v18, v18, 2.0, -v38
	s_waitcnt lgkmcnt(0)
	v_fma_f16 v29, v37, v35, -v29
	v_fma_f16 v35, v16, 2.0, -v33
	v_fma_f16 v19, v19, 2.0, -v30
	;; [unrolled: 1-line block ×3, first 2 shown]
	s_barrier
	v_sub_f16_e32 v16, v32, v29
	buffer_gl0_inv
	ds_write_b16 v45, v35
	ds_write_b16 v45, v33 offset:26
	ds_write_b16 v44, v18
	ds_write_b16 v44, v38 offset:26
	ds_write_b16 v43, v19
	ds_write_b16 v43, v30 offset:26
	ds_write_b16 v42, v21
	ds_write_b16 v42, v31 offset:26
	s_and_saveexec_b32 s0, s1
	s_cbranch_execz .LBB0_23
; %bb.22:
	v_mov_b32_e32 v18, 1
	v_fma_f16 v21, v32, 2.0, -v16
	v_lshlrev_b32_sdwa v19, v18, v34 dst_sel:DWORD dst_unused:UNUSED_PAD src0_sel:DWORD src1_sel:WORD_0
	v_lshlrev_b32_sdwa v18, v18, v36 dst_sel:DWORD dst_unused:UNUSED_PAD src0_sel:DWORD src1_sel:WORD_0
	v_add3_u32 v18, 0, v19, v18
	ds_write_b16 v18, v21
	ds_write_b16 v18, v16 offset:26
.LBB0_23:
	s_or_b32 exec_lo, exec_lo, s0
	v_mov_b32_e32 v18, 0x4ec5
	v_lshrrev_b16 v19, 11, v17
	v_mov_b32_e32 v29, 3
	s_waitcnt lgkmcnt(0)
	s_barrier
	v_mul_u32_u24_sdwa v17, v8, v18 dst_sel:DWORD dst_unused:UNUSED_PAD src0_sel:WORD_0 src1_sel:DWORD
	v_mul_u32_u24_sdwa v18, v9, v18 dst_sel:DWORD dst_unused:UNUSED_PAD src0_sel:WORD_0 src1_sel:DWORD
	v_mul_lo_u16 v21, v19, 26
	buffer_gl0_inv
	v_mov_b32_e32 v37, 0x9c
	v_lshrrev_b32_e32 v31, 19, v17
	v_lshrrev_b32_e32 v32, 19, v18
	v_sub_nc_u16 v21, v0, v21
	v_mov_b32_e32 v40, 1
	v_mul_u32_u24_sdwa v37, v19, v37 dst_sel:DWORD dst_unused:UNUSED_PAD src0_sel:WORD_0 src1_sel:DWORD
	v_mul_lo_u16 v17, v31, 26
	v_mul_lo_u16 v30, v32, 26
	v_lshlrev_b32_sdwa v18, v29, v21 dst_sel:DWORD dst_unused:UNUSED_PAD src0_sel:DWORD src1_sel:BYTE_0
	v_lshlrev_b32_sdwa v21, v40, v21 dst_sel:DWORD dst_unused:UNUSED_PAD src0_sel:DWORD src1_sel:BYTE_0
	v_mul_u32_u24_e32 v41, 0x9c, v31
	v_sub_nc_u16 v33, v8, v17
	v_sub_nc_u16 v34, v9, v30
	global_load_dwordx2 v[17:18], v18, s[12:13] offset:52
	v_add3_u32 v31, 0, v37, v21
	v_mul_u32_u24_e32 v43, 0x9c, v32
	v_lshlrev_b32_sdwa v30, v29, v33 dst_sel:DWORD dst_unused:UNUSED_PAD src0_sel:DWORD src1_sel:WORD_0
	v_lshlrev_b32_sdwa v29, v29, v34 dst_sel:DWORD dst_unused:UNUSED_PAD src0_sel:DWORD src1_sel:WORD_0
	;; [unrolled: 1-line block ×4, first 2 shown]
	v_cmp_gt_u32_e64 s0, 52, v0
	s_clause 0x1
	global_load_dwordx2 v[38:39], v30, s[12:13] offset:52
	global_load_dwordx2 v[45:46], v29, s[12:13] offset:52
	ds_read_u16 v35, v5 offset:1092
	ds_read_u16 v36, v5 offset:2184
	ds_read_u16 v30, v5
	ds_read_u16 v29, v5 offset:364
	ds_read_u16 v42, v5 offset:1456
	;; [unrolled: 1-line block ×6, first 2 shown]
	v_add3_u32 v32, 0, v41, v21
	v_add3_u32 v33, 0, v43, v33
	s_waitcnt vmcnt(0) lgkmcnt(0)
	s_barrier
	buffer_gl0_inv
	v_mul_f16_sdwa v40, v35, v17 dst_sel:DWORD dst_unused:UNUSED_PAD src0_sel:DWORD src1_sel:WORD_1
	v_mul_f16_sdwa v21, v28, v17 dst_sel:DWORD dst_unused:UNUSED_PAD src0_sel:DWORD src1_sel:WORD_1
	;; [unrolled: 1-line block ×4, first 2 shown]
	v_fmac_f16_e32 v40, v28, v17
	v_fma_f16 v43, v35, v17, -v21
	v_fmac_f16_e32 v41, v27, v18
	v_mul_f16_sdwa v17, v42, v38 dst_sel:DWORD dst_unused:UNUSED_PAD src0_sel:DWORD src1_sel:WORD_1
	v_mul_f16_sdwa v35, v47, v39 dst_sel:DWORD dst_unused:UNUSED_PAD src0_sel:DWORD src1_sel:WORD_1
	v_fma_f16 v37, v36, v18, -v34
	v_mul_f16_sdwa v34, v48, v45 dst_sel:DWORD dst_unused:UNUSED_PAD src0_sel:DWORD src1_sel:WORD_1
	v_mul_f16_sdwa v36, v49, v46 dst_sel:DWORD dst_unused:UNUSED_PAD src0_sel:DWORD src1_sel:WORD_1
	;; [unrolled: 1-line block ×4, first 2 shown]
	v_add_f16_e32 v51, v40, v41
	v_fmac_f16_e32 v17, v24, v38
	v_fmac_f16_e32 v35, v23, v39
	v_mul_f16_sdwa v27, v25, v45 dst_sel:DWORD dst_unused:UNUSED_PAD src0_sel:DWORD src1_sel:WORD_1
	v_mul_f16_sdwa v28, v26, v46 dst_sel:DWORD dst_unused:UNUSED_PAD src0_sel:DWORD src1_sel:WORD_1
	v_fmac_f16_e32 v34, v25, v45
	v_fmac_f16_e32 v36, v26, v46
	v_add_f16_e32 v50, v22, v40
	v_sub_f16_e32 v52, v43, v37
	v_fma_f16 v44, v42, v38, -v18
	v_fma_f16 v38, v47, v39, -v21
	v_fmac_f16_e32 v22, -0.5, v51
	v_add_f16_e32 v24, v17, v35
	v_fma_f16 v42, v48, v45, -v27
	v_fma_f16 v39, v49, v46, -v28
	v_add_f16_e32 v27, v34, v36
	v_add_f16_e32 v23, v20, v17
	;; [unrolled: 1-line block ×3, first 2 shown]
	v_fmamk_f16 v21, v52, 0xbaee, v22
	v_sub_f16_e32 v25, v44, v38
	v_fmac_f16_e32 v20, -0.5, v24
	v_fmac_f16_e32 v22, 0x3aee, v52
	v_add_f16_e32 v26, v14, v34
	v_sub_f16_e32 v28, v42, v39
	v_fmac_f16_e32 v14, -0.5, v27
	v_add_f16_e32 v23, v23, v35
	ds_write_b16 v31, v18
	ds_write_b16 v31, v21 offset:52
	ds_write_b16 v31, v22 offset:104
	v_fmamk_f16 v21, v25, 0xbaee, v20
	v_fmac_f16_e32 v20, 0x3aee, v25
	v_add_f16_e32 v24, v26, v36
	v_fmamk_f16 v18, v28, 0xbaee, v14
	v_fmac_f16_e32 v14, 0x3aee, v28
	ds_write_b16 v32, v23
	ds_write_b16 v32, v21 offset:52
	ds_write_b16 v32, v20 offset:104
	ds_write_b16 v33, v24
	ds_write_b16 v33, v18 offset:52
	ds_write_b16 v33, v14 offset:104
	s_waitcnt lgkmcnt(0)
	s_barrier
	buffer_gl0_inv
	ds_read_u16 v21, v5
	ds_read_u16 v27, v5 offset:468
	ds_read_u16 v26, v5 offset:936
	;; [unrolled: 1-line block ×6, first 2 shown]
                                        ; implicit-def: $vgpr28
	s_and_saveexec_b32 s1, s0
	s_cbranch_execz .LBB0_25
; %bb.24:
	ds_read_u16 v6, v5 offset:2236
	ds_read_u16 v18, v5 offset:364
	;; [unrolled: 1-line block ×6, first 2 shown]
	s_waitcnt lgkmcnt(5)
	ds_read_u16_d16_hi v6, v5 offset:2704
.LBB0_25:
	s_or_b32 exec_lo, exec_lo, s1
	v_add_f16_e32 v20, v43, v37
	v_sub_f16_e32 v40, v40, v41
	v_add_f16_e32 v41, v44, v38
	v_add_f16_e32 v43, v30, v43
	v_sub_f16_e32 v17, v17, v35
	v_fmac_f16_e32 v30, -0.5, v20
	v_add_f16_e32 v20, v29, v44
	v_add_f16_e32 v44, v42, v39
	v_fmac_f16_e32 v29, -0.5, v41
	v_add_f16_e32 v37, v43, v37
	v_add_f16_e32 v35, v19, v42
	v_sub_f16_e32 v34, v34, v36
	v_fmac_f16_e32 v19, -0.5, v44
	v_fmamk_f16 v41, v40, 0x3aee, v30
	v_fmac_f16_e32 v30, 0xbaee, v40
	v_add_f16_e32 v20, v20, v38
	v_fmamk_f16 v36, v17, 0x3aee, v29
	v_fmac_f16_e32 v29, 0xbaee, v17
	v_add_f16_e32 v35, v35, v39
	v_fmamk_f16 v17, v34, 0x3aee, v19
	v_fmac_f16_e32 v19, 0xbaee, v34
	s_waitcnt lgkmcnt(0)
	s_barrier
	buffer_gl0_inv
	ds_write_b16 v31, v37
	ds_write_b16 v31, v41 offset:52
	ds_write_b16 v31, v30 offset:104
	ds_write_b16 v32, v20
	ds_write_b16 v32, v36 offset:52
	ds_write_b16 v32, v29 offset:104
	;; [unrolled: 3-line block ×3, first 2 shown]
	s_waitcnt lgkmcnt(0)
	s_barrier
	buffer_gl0_inv
	ds_read_u16 v20, v5
	ds_read_u16 v43, v5 offset:468
	ds_read_u16 v42, v5 offset:936
	;; [unrolled: 1-line block ×6, first 2 shown]
                                        ; implicit-def: $vgpr30
	s_and_saveexec_b32 s1, s0
	s_cbranch_execz .LBB0_27
; %bb.26:
	ds_read_u16 v12, v5 offset:2236
	ds_read_u16 v17, v5 offset:364
	;; [unrolled: 1-line block ×6, first 2 shown]
	s_waitcnt lgkmcnt(5)
	ds_read_u16_d16_hi v12, v5 offset:2704
.LBB0_27:
	s_or_b32 exec_lo, exec_lo, s1
	v_lshrrev_b16 v29, 1, v0
	v_lshrrev_b16 v31, 1, v8
	v_mov_b32_e32 v32, 0x6907
	v_mov_b32_e32 v33, 6
	v_lshrrev_b32_e32 v62, 16, v6
	v_and_b32_e32 v29, 0x7f, v29
	s_waitcnt lgkmcnt(0)
	v_lshrrev_b32_e32 v63, 16, v12
	v_mul_u32_u24_sdwa v31, v31, v32 dst_sel:DWORD dst_unused:UNUSED_PAD src0_sel:WORD_0 src1_sel:DWORD
	v_mul_lo_u16 v29, 0xd3, v29
	v_lshrrev_b32_e32 v31, 20, v31
	v_lshrrev_b16 v29, 13, v29
	v_mul_lo_u16 v31, 0x4e, v31
	v_mul_lo_u16 v32, 0x4e, v29
	v_sub_nc_u16 v31, v8, v31
	v_sub_nc_u16 v32, v0, v32
	v_and_b32_e32 v31, 0xffff, v31
	v_mul_u32_u24_sdwa v33, v32, v33 dst_sel:DWORD dst_unused:UNUSED_PAD src0_sel:BYTE_0 src1_sel:DWORD
	v_mul_u32_u24_e32 v34, 6, v31
	v_lshlrev_b32_e32 v33, 2, v33
	v_lshlrev_b32_e32 v34, 2, v34
	s_clause 0x3
	global_load_dwordx4 v[50:53], v33, s[12:13] offset:260
	global_load_dwordx2 v[58:59], v33, s[12:13] offset:276
	global_load_dwordx4 v[54:57], v34, s[12:13] offset:260
	global_load_dwordx2 v[60:61], v34, s[12:13] offset:276
	v_mov_b32_e32 v33, 0x444
	v_mov_b32_e32 v34, 1
	s_waitcnt vmcnt(0)
	s_barrier
	buffer_gl0_inv
	v_mul_u32_u24_sdwa v33, v29, v33 dst_sel:DWORD dst_unused:UNUSED_PAD src0_sel:WORD_0 src1_sel:DWORD
	v_lshlrev_b32_sdwa v32, v34, v32 dst_sel:DWORD dst_unused:UNUSED_PAD src0_sel:DWORD src1_sel:BYTE_0
	v_lshl_add_u32 v29, v31, 1, 0
	v_add3_u32 v31, 0, v33, v32
	v_mul_f16_sdwa v48, v39, v58 dst_sel:DWORD dst_unused:UNUSED_PAD src0_sel:DWORD src1_sel:WORD_1
	v_mul_f16_sdwa v45, v43, v50 dst_sel:DWORD dst_unused:UNUSED_PAD src0_sel:DWORD src1_sel:WORD_1
	;; [unrolled: 1-line block ×12, first 2 shown]
	v_fmac_f16_e32 v45, v27, v50
	v_fmac_f16_e32 v44, v26, v51
	;; [unrolled: 1-line block ×4, first 2 shown]
	v_mul_f16_sdwa v64, v27, v50 dst_sel:DWORD dst_unused:UNUSED_PAD src0_sel:DWORD src1_sel:WORD_1
	v_mul_f16_sdwa v69, v22, v59 dst_sel:DWORD dst_unused:UNUSED_PAD src0_sel:DWORD src1_sel:WORD_1
	;; [unrolled: 1-line block ×7, first 2 shown]
	v_fma_f16 v42, v42, v51, -v65
	v_fmac_f16_e32 v46, v25, v52
	v_fma_f16 v27, v41, v52, -v66
	v_fmac_f16_e32 v47, v24, v53
	v_fma_f16 v40, v40, v53, -v67
	v_fma_f16 v39, v39, v58, -v68
	v_fmac_f16_e32 v34, v7, v56
	v_fmac_f16_e32 v35, v6, v57
	v_add_f16_e32 v6, v45, v49
	v_add_f16_e32 v7, v44, v48
	v_fma_f16 v43, v43, v50, -v64
	v_fma_f16 v38, v38, v59, -v69
	v_mul_f16_sdwa v70, v14, v54 dst_sel:DWORD dst_unused:UNUSED_PAD src0_sel:DWORD src1_sel:WORD_1
	v_mul_f16_sdwa v37, v30, v61 dst_sel:DWORD dst_unused:UNUSED_PAD src0_sel:DWORD src1_sel:WORD_1
	v_fmac_f16_e32 v33, v14, v54
	v_fmac_f16_e32 v32, v15, v55
	v_fma_f16 v24, v16, v55, -v71
	v_fma_f16 v22, v13, v56, -v72
	v_add_f16_e32 v13, v46, v47
	v_sub_f16_e32 v14, v42, v39
	v_sub_f16_e32 v15, v40, v27
	v_add_f16_e32 v16, v7, v6
	v_fma_f16 v25, v12, v57, -v73
	v_sub_f16_e32 v12, v43, v38
	v_mul_f16_sdwa v75, v28, v61 dst_sel:DWORD dst_unused:UNUSED_PAD src0_sel:DWORD src1_sel:WORD_1
	v_fma_f16 v23, v19, v54, -v70
	v_fmac_f16_e32 v37, v28, v61
	v_sub_f16_e32 v19, v7, v6
	v_sub_f16_e32 v6, v6, v13
	;; [unrolled: 1-line block ×3, first 2 shown]
	v_add_f16_e32 v28, v15, v14
	v_sub_f16_e32 v41, v15, v14
	v_add_f16_e32 v13, v13, v16
	v_sub_f16_e32 v14, v14, v12
	v_sub_f16_e32 v15, v12, v15
	v_add_f16_e32 v12, v28, v12
	v_mul_f16_e32 v6, 0x3a52, v6
	v_mul_f16_e32 v28, 0x3846, v41
	v_add_f16_e32 v50, v21, v13
	v_mul_f16_e32 v41, 0xbb00, v14
	v_mul_f16_e32 v16, 0x2b26, v7
	v_fmamk_f16 v7, v7, 0x2b26, v6
	v_fmamk_f16 v51, v15, 0xb574, v28
	;; [unrolled: 1-line block ×3, first 2 shown]
	v_fma_f16 v15, v15, 0x3574, -v41
	v_fma_f16 v6, v19, 0xb9e0, -v6
	;; [unrolled: 1-line block ×4, first 2 shown]
	v_mul_f16_sdwa v36, v63, v60 dst_sel:DWORD dst_unused:UNUSED_PAD src0_sel:DWORD src1_sel:WORD_1
	v_mul_f16_sdwa v74, v62, v60 dst_sel:DWORD dst_unused:UNUSED_PAD src0_sel:DWORD src1_sel:WORD_1
	v_fmac_f16_e32 v51, 0xb70e, v12
	v_add_f16_e32 v7, v7, v13
	v_fmac_f16_e32 v15, 0xb70e, v12
	v_add_f16_e32 v6, v6, v13
	;; [unrolled: 2-line block ×3, first 2 shown]
	v_fmac_f16_e32 v36, v62, v60
	v_fma_f16 v26, v63, v60, -v74
	v_fma_f16 v21, v30, v61, -v75
	v_add_f16_e32 v13, v51, v7
	v_add_f16_e32 v16, v15, v6
	v_sub_f16_e32 v19, v12, v14
	v_add_f16_e32 v12, v14, v12
	v_sub_f16_e32 v6, v6, v15
	ds_write_b16 v31, v50
	v_sub_f16_e32 v7, v7, v51
	ds_write_b16 v31, v13 offset:156
	ds_write_b16 v31, v16 offset:312
	;; [unrolled: 1-line block ×6, first 2 shown]
	s_and_saveexec_b32 s1, s0
	s_cbranch_execz .LBB0_29
; %bb.28:
	v_add_f16_e32 v6, v33, v37
	v_add_f16_e32 v7, v32, v36
	;; [unrolled: 1-line block ×3, first 2 shown]
	v_sub_f16_e32 v14, v25, v22
	v_sub_f16_e32 v16, v24, v26
	;; [unrolled: 1-line block ×3, first 2 shown]
	v_add_f16_e32 v15, v7, v6
	v_sub_f16_e32 v19, v6, v12
	v_sub_f16_e32 v28, v12, v7
	;; [unrolled: 1-line block ×4, first 2 shown]
	v_add_f16_e32 v12, v12, v15
	v_sub_f16_e32 v15, v14, v16
	v_add_f16_e32 v14, v14, v16
	v_sub_f16_e32 v16, v16, v13
	v_mul_f16_e32 v7, 0x3a52, v19
	v_add_f16_e32 v18, v18, v12
	v_mul_f16_e32 v15, 0x3846, v15
	v_add_f16_e32 v13, v14, v13
	v_mul_f16_e32 v19, 0xbb00, v16
	v_fmamk_f16 v14, v28, 0x2b26, v7
	v_mul_f16_e32 v28, 0x2b26, v28
	v_fmamk_f16 v12, v12, 0xbcab, v18
	v_fmamk_f16 v41, v30, 0xb574, v15
	v_fma_f16 v7, v6, 0xb9e0, -v7
	v_fma_f16 v19, v30, 0x3574, -v19
	;; [unrolled: 1-line block ×4, first 2 shown]
	v_add_f16_e32 v14, v14, v12
	v_fmac_f16_e32 v41, 0xb70e, v13
	v_add_f16_e32 v7, v7, v12
	v_fmac_f16_e32 v19, 0xb70e, v13
	v_fmac_f16_e32 v15, 0xb70e, v13
	v_add_f16_e32 v6, v6, v12
	v_sub_f16_e32 v12, v14, v41
	v_add_f16_e32 v14, v41, v14
	v_sub_f16_e32 v13, v7, v19
	;; [unrolled: 2-line block ×3, first 2 shown]
	v_add_f16_e32 v6, v15, v6
	ds_write_b16 v29, v18 offset:2184
	ds_write_b16 v29, v14 offset:2340
	;; [unrolled: 1-line block ×7, first 2 shown]
.LBB0_29:
	s_or_b32 exec_lo, exec_lo, s1
	v_add_f16_e32 v6, v43, v38
	v_add_f16_e32 v7, v42, v39
	;; [unrolled: 1-line block ×3, first 2 shown]
	v_sub_f16_e32 v14, v44, v48
	v_sub_f16_e32 v15, v47, v46
	;; [unrolled: 1-line block ×3, first 2 shown]
	v_add_f16_e32 v16, v7, v6
	v_sub_f16_e32 v18, v7, v6
	v_sub_f16_e32 v6, v6, v13
	;; [unrolled: 1-line block ×3, first 2 shown]
	v_add_f16_e32 v19, v15, v14
	v_add_f16_e32 v13, v13, v16
	v_sub_f16_e32 v16, v15, v14
	v_sub_f16_e32 v15, v12, v15
	v_sub_f16_e32 v14, v14, v12
	v_add_f16_e32 v27, v19, v12
	v_add_f16_e32 v20, v20, v13
	v_mul_f16_e32 v6, 0x3a52, v6
	v_mul_f16_e32 v12, 0x2b26, v7
	;; [unrolled: 1-line block ×4, first 2 shown]
	v_fmamk_f16 v13, v13, 0xbcab, v20
	v_fmamk_f16 v7, v7, 0x2b26, v6
	v_fma_f16 v12, v18, 0x39e0, -v12
	v_fma_f16 v6, v18, 0xb9e0, -v6
	v_fmamk_f16 v28, v15, 0xb574, v16
	v_fma_f16 v30, v14, 0xbb00, -v16
	v_fma_f16 v38, v15, 0x3574, -v19
	v_add_f16_e32 v39, v7, v13
	v_add_f16_e32 v40, v12, v13
	;; [unrolled: 1-line block ×3, first 2 shown]
	s_waitcnt lgkmcnt(0)
	s_barrier
	buffer_gl0_inv
	ds_read_u16 v6, v5
	ds_read_u16 v7, v5 offset:364
	ds_read_u16 v15, v5 offset:1456
	;; [unrolled: 1-line block ×8, first 2 shown]
	v_fmac_f16_e32 v28, 0xb70e, v27
	v_fmac_f16_e32 v38, 0xb70e, v27
	;; [unrolled: 1-line block ×3, first 2 shown]
	s_waitcnt lgkmcnt(0)
	s_barrier
	v_sub_f16_e32 v27, v39, v28
	v_sub_f16_e32 v42, v41, v38
	v_add_f16_e32 v43, v30, v40
	v_sub_f16_e32 v30, v40, v30
	v_add_f16_e32 v38, v38, v41
	v_add_f16_e32 v28, v28, v39
	buffer_gl0_inv
	ds_write_b16 v31, v20
	ds_write_b16 v31, v27 offset:156
	ds_write_b16 v31, v42 offset:312
	;; [unrolled: 1-line block ×6, first 2 shown]
	s_and_saveexec_b32 s1, s0
	s_cbranch_execz .LBB0_31
; %bb.30:
	v_add_f16_e32 v20, v23, v21
	v_add_f16_e32 v21, v24, v26
	v_add_f16_e32 v22, v22, v25
	v_sub_f16_e32 v24, v32, v36
	v_sub_f16_e32 v25, v35, v34
	;; [unrolled: 1-line block ×3, first 2 shown]
	v_add_f16_e32 v26, v21, v20
	v_sub_f16_e32 v27, v21, v20
	v_sub_f16_e32 v20, v20, v22
	;; [unrolled: 1-line block ×3, first 2 shown]
	v_add_f16_e32 v28, v25, v24
	v_add_f16_e32 v22, v22, v26
	v_sub_f16_e32 v26, v25, v24
	v_sub_f16_e32 v24, v24, v23
	;; [unrolled: 1-line block ×3, first 2 shown]
	v_add_f16_e32 v23, v28, v23
	v_add_f16_e32 v17, v17, v22
	v_mul_f16_e32 v20, 0x3a52, v20
	v_mul_f16_e32 v28, 0x2b26, v21
	v_mul_f16_e32 v26, 0x3846, v26
	v_mul_f16_e32 v30, 0xbb00, v24
	v_fmamk_f16 v22, v22, 0xbcab, v17
	v_fmamk_f16 v21, v21, 0x2b26, v20
	v_fma_f16 v28, v27, 0x39e0, -v28
	v_fma_f16 v20, v27, 0xb9e0, -v20
	v_fmamk_f16 v27, v25, 0xb574, v26
	v_fma_f16 v25, v25, 0x3574, -v30
	v_fma_f16 v24, v24, 0xbb00, -v26
	v_add_f16_e32 v21, v21, v22
	v_add_f16_e32 v20, v20, v22
	v_fmac_f16_e32 v27, 0xb70e, v23
	v_fmac_f16_e32 v25, 0xb70e, v23
	v_add_f16_e32 v26, v28, v22
	v_fmac_f16_e32 v24, 0xb70e, v23
	v_sub_f16_e32 v22, v21, v27
	v_sub_f16_e32 v23, v20, v25
	v_add_f16_e32 v20, v25, v20
	v_add_f16_e32 v28, v24, v26
	v_sub_f16_e32 v24, v26, v24
	v_add_f16_e32 v21, v27, v21
	ds_write_b16 v29, v17 offset:2184
	ds_write_b16 v29, v22 offset:2340
	;; [unrolled: 1-line block ×7, first 2 shown]
.LBB0_31:
	s_or_b32 exec_lo, exec_lo, s1
	s_waitcnt lgkmcnt(0)
	s_barrier
	buffer_gl0_inv
	s_and_saveexec_b32 s0, vcc_lo
	s_cbranch_execz .LBB0_33
; %bb.32:
	v_lshlrev_b32_e32 v20, 1, v9
	v_mov_b32_e32 v21, 0
	v_mad_u64_u32 v[26:27], null, s2, v0, 0
	v_mul_lo_u32 v38, s4, v4
	v_mad_u64_u32 v[28:29], null, s2, v11, 0
	v_lshlrev_b64 v[22:23], 2, v[20:21]
	v_lshlrev_b32_e32 v20, 1, v8
	v_add_nc_u32_e32 v42, 0x444, v0
	v_mad_u64_u32 v[30:31], null, s2, v8, 0
	v_add_nc_u32_e32 v43, 0x4fa, v0
	v_add_co_u32 v17, vcc_lo, s12, v22
	v_add_co_ci_u32_e32 v23, vcc_lo, s13, v23, vcc_lo
	v_lshlrev_b64 v[24:25], 2, v[20:21]
	v_add_co_u32 v22, vcc_lo, 0x800, v17
	v_lshlrev_b32_e32 v20, 1, v0
	v_add_co_ci_u32_e32 v23, vcc_lo, 0, v23, vcc_lo
	v_add_co_u32 v17, vcc_lo, s12, v24
	v_add_co_ci_u32_e32 v25, vcc_lo, s13, v25, vcc_lo
	v_lshlrev_b64 v[20:21], 2, v[20:21]
	v_add_co_u32 v24, vcc_lo, 0x800, v17
	v_add_co_ci_u32_e32 v25, vcc_lo, 0, v25, vcc_lo
	global_load_dwordx2 v[22:23], v[22:23], off offset:84
	v_add_co_u32 v17, vcc_lo, s12, v20
	global_load_dwordx2 v[24:25], v[24:25], off offset:84
	v_add_co_ci_u32_e32 v21, vcc_lo, s13, v21, vcc_lo
	v_add_co_u32 v20, vcc_lo, 0x800, v17
	v_mul_lo_u32 v17, s5, v3
	v_add_co_ci_u32_e32 v21, vcc_lo, 0, v21, vcc_lo
	v_mad_u64_u32 v[3:4], null, s4, v3, 0
	v_mad_u64_u32 v[34:35], null, s2, v42, 0
	global_load_dwordx2 v[20:21], v[20:21], off offset:84
	ds_read_u16 v44, v5 offset:2912
	ds_read_u16 v45, v5 offset:2548
	;; [unrolled: 1-line block ×8, first 2 shown]
	ds_read_u16 v52, v5
	v_lshrrev_b32_e32 v5, 1, v9
	v_mad_u64_u32 v[36:37], null, s2, v43, 0
	v_add3_u32 v4, v4, v38, v17
	v_mov_b32_e32 v17, v29
	v_mul_hi_u32 v53, 0xf00f00f1, v5
	v_mov_b32_e32 v5, v27
	v_mov_b32_e32 v27, v31
	v_mad_u64_u32 v[32:33], null, s2, v10, 0
	v_lshlrev_b64 v[1:2], 2, v[1:2]
	v_mad_u64_u32 v[38:39], null, s3, v0, v[5:6]
	v_mad_u64_u32 v[39:40], null, s3, v11, v[17:18]
	v_mov_b32_e32 v0, v35
	v_mad_u64_u32 v[40:41], null, s3, v8, v[27:28]
	v_mov_b32_e32 v5, v37
	v_lshrrev_b32_e32 v8, 8, v53
	v_lshlrev_b64 v[3:4], 2, v[3:4]
	v_mad_u64_u32 v[41:42], null, s3, v42, v[0:1]
	v_mov_b32_e32 v29, v33
	v_mad_u64_u32 v[42:43], null, s3, v43, v[5:6]
	v_mad_u32_u24 v5, 0x444, v8, v9
	v_add_co_u32 v0, vcc_lo, s10, v3
	v_mad_u64_u32 v[10:11], null, s3, v10, v[29:30]
	v_add_co_ci_u32_e32 v8, vcc_lo, s11, v4, vcc_lo
	v_mov_b32_e32 v29, v39
	v_mad_u64_u32 v[3:4], null, s2, v5, 0
	v_add_nc_u32_e32 v17, 0x222, v5
	v_mov_b32_e32 v27, v38
	v_mov_b32_e32 v31, v40
	v_add_nc_u32_e32 v38, 0x444, v5
	v_add_co_u32 v39, vcc_lo, v0, v1
	v_add_co_ci_u32_e32 v40, vcc_lo, v8, v2, vcc_lo
	v_lshlrev_b64 v[8:9], 2, v[28:29]
	v_mad_u64_u32 v[28:29], null, s2, v17, 0
	v_mov_b32_e32 v33, v10
	v_lshlrev_b64 v[10:11], 2, v[30:31]
	v_mad_u64_u32 v[30:31], null, s2, v38, 0
	v_mov_b32_e32 v2, v4
	v_lshlrev_b64 v[0:1], 2, v[26:27]
	v_mov_b32_e32 v35, v41
	v_mov_b32_e32 v37, v42
	v_lshlrev_b64 v[26:27], 2, v[32:33]
	v_mad_u64_u32 v[4:5], null, s3, v5, v[2:3]
	v_mov_b32_e32 v2, v29
	v_add_co_u32 v0, vcc_lo, v39, v0
	v_mov_b32_e32 v5, v31
	v_add_co_ci_u32_e32 v1, vcc_lo, v40, v1, vcc_lo
	v_lshlrev_b64 v[32:33], 2, v[34:35]
	v_lshlrev_b64 v[34:35], 2, v[36:37]
	v_add_co_u32 v8, vcc_lo, v39, v8
	v_mad_u64_u32 v[36:37], null, s3, v17, v[2:3]
	v_add_co_ci_u32_e32 v9, vcc_lo, v40, v9, vcc_lo
	v_add_co_u32 v10, vcc_lo, v39, v10
	v_mad_u64_u32 v[37:38], null, s3, v38, v[5:6]
	v_add_co_ci_u32_e32 v11, vcc_lo, v40, v11, vcc_lo
	v_add_co_u32 v26, vcc_lo, v39, v26
	v_add_co_ci_u32_e32 v27, vcc_lo, v40, v27, vcc_lo
	v_mov_b32_e32 v29, v36
	v_add_co_u32 v32, vcc_lo, v39, v32
	v_lshlrev_b64 v[2:3], 2, v[3:4]
	v_add_co_ci_u32_e32 v33, vcc_lo, v40, v33, vcc_lo
	v_mov_b32_e32 v31, v37
	v_add_co_u32 v4, vcc_lo, v39, v34
	v_lshlrev_b64 v[28:29], 2, v[28:29]
	v_add_co_ci_u32_e32 v5, vcc_lo, v40, v35, vcc_lo
	v_lshlrev_b64 v[30:31], 2, v[30:31]
	v_add_co_u32 v2, vcc_lo, v39, v2
	v_add_co_ci_u32_e32 v3, vcc_lo, v40, v3, vcc_lo
	v_add_co_u32 v28, vcc_lo, v39, v28
	v_add_co_ci_u32_e32 v29, vcc_lo, v40, v29, vcc_lo
	;; [unrolled: 2-line block ×3, first 2 shown]
	s_waitcnt vmcnt(2)
	v_mul_f16_sdwa v17, v18, v22 dst_sel:DWORD dst_unused:UNUSED_PAD src0_sel:DWORD src1_sel:WORD_1
	v_mul_f16_sdwa v34, v19, v23 dst_sel:DWORD dst_unused:UNUSED_PAD src0_sel:DWORD src1_sel:WORD_1
	s_waitcnt lgkmcnt(5)
	v_mul_f16_sdwa v35, v47, v22 dst_sel:DWORD dst_unused:UNUSED_PAD src0_sel:DWORD src1_sel:WORD_1
	v_mul_f16_sdwa v36, v44, v23 dst_sel:DWORD dst_unused:UNUSED_PAD src0_sel:DWORD src1_sel:WORD_1
	v_fma_f16 v17, v47, v22, -v17
	v_fma_f16 v34, v44, v23, -v34
	v_fmac_f16_e32 v35, v18, v22
	v_fmac_f16_e32 v36, v19, v23
	s_waitcnt vmcnt(1)
	v_mul_f16_sdwa v18, v15, v24 dst_sel:DWORD dst_unused:UNUSED_PAD src0_sel:DWORD src1_sel:WORD_1
	v_mul_f16_sdwa v19, v16, v25 dst_sel:DWORD dst_unused:UNUSED_PAD src0_sel:DWORD src1_sel:WORD_1
	s_waitcnt lgkmcnt(4)
	v_mul_f16_sdwa v22, v48, v24 dst_sel:DWORD dst_unused:UNUSED_PAD src0_sel:DWORD src1_sel:WORD_1
	v_mul_f16_sdwa v23, v45, v25 dst_sel:DWORD dst_unused:UNUSED_PAD src0_sel:DWORD src1_sel:WORD_1
	v_add_f16_e32 v37, v17, v34
	v_sub_f16_e32 v38, v35, v36
	v_add_f16_e32 v39, v35, v36
	v_sub_f16_e32 v40, v17, v34
	s_waitcnt lgkmcnt(2)
	v_add_f16_e32 v17, v50, v17
	v_add_f16_e32 v35, v14, v35
	v_fma_f16 v18, v48, v24, -v18
	v_fma_f16 v19, v45, v25, -v19
	v_fmac_f16_e32 v22, v15, v24
	v_fmac_f16_e32 v23, v16, v25
	s_waitcnt vmcnt(0)
	v_mul_f16_sdwa v15, v13, v20 dst_sel:DWORD dst_unused:UNUSED_PAD src0_sel:DWORD src1_sel:WORD_1
	v_mul_f16_sdwa v16, v12, v21 dst_sel:DWORD dst_unused:UNUSED_PAD src0_sel:DWORD src1_sel:WORD_1
	;; [unrolled: 1-line block ×4, first 2 shown]
	v_fma_f16 v14, -0.5, v39, v14
	v_add_f16_e32 v17, v17, v34
	v_add_f16_e32 v34, v35, v36
	;; [unrolled: 1-line block ×3, first 2 shown]
	v_sub_f16_e32 v36, v22, v23
	v_add_f16_e32 v39, v22, v23
	v_sub_f16_e32 v41, v18, v19
	s_waitcnt lgkmcnt(1)
	v_add_f16_e32 v18, v51, v18
	v_add_f16_e32 v22, v7, v22
	v_fma_f16 v15, v49, v20, -v15
	v_fma_f16 v16, v46, v21, -v16
	v_fmac_f16_e32 v24, v13, v20
	v_fmac_f16_e32 v25, v12, v21
	v_add_f16_e32 v18, v18, v19
	v_add_f16_e32 v19, v22, v23
	;; [unrolled: 1-line block ×3, first 2 shown]
	v_fma_f16 v37, -0.5, v37, v50
	v_add_f16_e32 v23, v24, v25
	v_fma_f16 v20, -0.5, v35, v51
	v_sub_f16_e32 v22, v24, v25
	v_sub_f16_e32 v35, v15, v16
	s_waitcnt lgkmcnt(0)
	v_add_f16_e32 v15, v52, v15
	v_add_f16_e32 v24, v6, v24
	v_fma_f16 v21, -0.5, v21, v52
	v_fma_f16 v6, -0.5, v23, v6
	;; [unrolled: 1-line block ×3, first 2 shown]
	v_fmamk_f16 v12, v38, 0xbaee, v37
	v_fmamk_f16 v13, v40, 0x3aee, v14
	v_add_f16_e32 v15, v15, v16
	v_add_f16_e32 v16, v24, v25
	v_fmamk_f16 v23, v22, 0xbaee, v21
	v_fmamk_f16 v24, v35, 0x3aee, v6
	v_fmac_f16_e32 v21, 0x3aee, v22
	v_fmac_f16_e32 v6, 0xbaee, v35
	;; [unrolled: 1-line block ×3, first 2 shown]
	v_pack_b32_f16 v17, v34, v17
	v_fmamk_f16 v34, v36, 0xbaee, v20
	v_fmamk_f16 v38, v41, 0x3aee, v7
	v_fmac_f16_e32 v20, 0x3aee, v36
	v_fmac_f16_e32 v7, 0xbaee, v41
	v_fmac_f16_e32 v14, 0xbaee, v40
	v_pack_b32_f16 v12, v13, v12
	v_pack_b32_f16 v13, v16, v15
	;; [unrolled: 1-line block ×8, first 2 shown]
	global_store_dword v[0:1], v13, off
	global_store_dword v[8:9], v6, off
	;; [unrolled: 1-line block ×9, first 2 shown]
.LBB0_33:
	s_endpgm
	.section	.rodata,"a",@progbits
	.p2align	6, 0x0
	.amdhsa_kernel fft_rtc_back_len1638_factors_13_2_3_7_3_wgs_182_tpt_182_halfLds_half_op_CI_CI_sbrr_dirReg
		.amdhsa_group_segment_fixed_size 0
		.amdhsa_private_segment_fixed_size 0
		.amdhsa_kernarg_size 104
		.amdhsa_user_sgpr_count 6
		.amdhsa_user_sgpr_private_segment_buffer 1
		.amdhsa_user_sgpr_dispatch_ptr 0
		.amdhsa_user_sgpr_queue_ptr 0
		.amdhsa_user_sgpr_kernarg_segment_ptr 1
		.amdhsa_user_sgpr_dispatch_id 0
		.amdhsa_user_sgpr_flat_scratch_init 0
		.amdhsa_user_sgpr_private_segment_size 0
		.amdhsa_wavefront_size32 1
		.amdhsa_uses_dynamic_stack 0
		.amdhsa_system_sgpr_private_segment_wavefront_offset 0
		.amdhsa_system_sgpr_workgroup_id_x 1
		.amdhsa_system_sgpr_workgroup_id_y 0
		.amdhsa_system_sgpr_workgroup_id_z 0
		.amdhsa_system_sgpr_workgroup_info 0
		.amdhsa_system_vgpr_workitem_id 0
		.amdhsa_next_free_vgpr 84
		.amdhsa_next_free_sgpr 31
		.amdhsa_reserve_vcc 1
		.amdhsa_reserve_flat_scratch 0
		.amdhsa_float_round_mode_32 0
		.amdhsa_float_round_mode_16_64 0
		.amdhsa_float_denorm_mode_32 3
		.amdhsa_float_denorm_mode_16_64 3
		.amdhsa_dx10_clamp 1
		.amdhsa_ieee_mode 1
		.amdhsa_fp16_overflow 0
		.amdhsa_workgroup_processor_mode 1
		.amdhsa_memory_ordered 1
		.amdhsa_forward_progress 0
		.amdhsa_shared_vgpr_count 0
		.amdhsa_exception_fp_ieee_invalid_op 0
		.amdhsa_exception_fp_denorm_src 0
		.amdhsa_exception_fp_ieee_div_zero 0
		.amdhsa_exception_fp_ieee_overflow 0
		.amdhsa_exception_fp_ieee_underflow 0
		.amdhsa_exception_fp_ieee_inexact 0
		.amdhsa_exception_int_div_zero 0
	.end_amdhsa_kernel
	.text
.Lfunc_end0:
	.size	fft_rtc_back_len1638_factors_13_2_3_7_3_wgs_182_tpt_182_halfLds_half_op_CI_CI_sbrr_dirReg, .Lfunc_end0-fft_rtc_back_len1638_factors_13_2_3_7_3_wgs_182_tpt_182_halfLds_half_op_CI_CI_sbrr_dirReg
                                        ; -- End function
	.section	.AMDGPU.csdata,"",@progbits
; Kernel info:
; codeLenInByte = 11016
; NumSgprs: 33
; NumVgprs: 84
; ScratchSize: 0
; MemoryBound: 0
; FloatMode: 240
; IeeeMode: 1
; LDSByteSize: 0 bytes/workgroup (compile time only)
; SGPRBlocks: 4
; VGPRBlocks: 10
; NumSGPRsForWavesPerEU: 33
; NumVGPRsForWavesPerEU: 84
; Occupancy: 10
; WaveLimiterHint : 1
; COMPUTE_PGM_RSRC2:SCRATCH_EN: 0
; COMPUTE_PGM_RSRC2:USER_SGPR: 6
; COMPUTE_PGM_RSRC2:TRAP_HANDLER: 0
; COMPUTE_PGM_RSRC2:TGID_X_EN: 1
; COMPUTE_PGM_RSRC2:TGID_Y_EN: 0
; COMPUTE_PGM_RSRC2:TGID_Z_EN: 0
; COMPUTE_PGM_RSRC2:TIDIG_COMP_CNT: 0
	.text
	.p2alignl 6, 3214868480
	.fill 48, 4, 3214868480
	.type	__hip_cuid_e0b79ded5c5645c1,@object ; @__hip_cuid_e0b79ded5c5645c1
	.section	.bss,"aw",@nobits
	.globl	__hip_cuid_e0b79ded5c5645c1
__hip_cuid_e0b79ded5c5645c1:
	.byte	0                               ; 0x0
	.size	__hip_cuid_e0b79ded5c5645c1, 1

	.ident	"AMD clang version 19.0.0git (https://github.com/RadeonOpenCompute/llvm-project roc-6.4.0 25133 c7fe45cf4b819c5991fe208aaa96edf142730f1d)"
	.section	".note.GNU-stack","",@progbits
	.addrsig
	.addrsig_sym __hip_cuid_e0b79ded5c5645c1
	.amdgpu_metadata
---
amdhsa.kernels:
  - .args:
      - .actual_access:  read_only
        .address_space:  global
        .offset:         0
        .size:           8
        .value_kind:     global_buffer
      - .offset:         8
        .size:           8
        .value_kind:     by_value
      - .actual_access:  read_only
        .address_space:  global
        .offset:         16
        .size:           8
        .value_kind:     global_buffer
      - .actual_access:  read_only
        .address_space:  global
        .offset:         24
        .size:           8
        .value_kind:     global_buffer
      - .actual_access:  read_only
        .address_space:  global
        .offset:         32
        .size:           8
        .value_kind:     global_buffer
      - .offset:         40
        .size:           8
        .value_kind:     by_value
      - .actual_access:  read_only
        .address_space:  global
        .offset:         48
        .size:           8
        .value_kind:     global_buffer
      - .actual_access:  read_only
        .address_space:  global
        .offset:         56
        .size:           8
        .value_kind:     global_buffer
      - .offset:         64
        .size:           4
        .value_kind:     by_value
      - .actual_access:  read_only
        .address_space:  global
        .offset:         72
        .size:           8
        .value_kind:     global_buffer
      - .actual_access:  read_only
        .address_space:  global
        .offset:         80
        .size:           8
        .value_kind:     global_buffer
      - .actual_access:  read_only
        .address_space:  global
        .offset:         88
        .size:           8
        .value_kind:     global_buffer
      - .actual_access:  write_only
        .address_space:  global
        .offset:         96
        .size:           8
        .value_kind:     global_buffer
    .group_segment_fixed_size: 0
    .kernarg_segment_align: 8
    .kernarg_segment_size: 104
    .language:       OpenCL C
    .language_version:
      - 2
      - 0
    .max_flat_workgroup_size: 182
    .name:           fft_rtc_back_len1638_factors_13_2_3_7_3_wgs_182_tpt_182_halfLds_half_op_CI_CI_sbrr_dirReg
    .private_segment_fixed_size: 0
    .sgpr_count:     33
    .sgpr_spill_count: 0
    .symbol:         fft_rtc_back_len1638_factors_13_2_3_7_3_wgs_182_tpt_182_halfLds_half_op_CI_CI_sbrr_dirReg.kd
    .uniform_work_group_size: 1
    .uses_dynamic_stack: false
    .vgpr_count:     84
    .vgpr_spill_count: 0
    .wavefront_size: 32
    .workgroup_processor_mode: 1
amdhsa.target:   amdgcn-amd-amdhsa--gfx1030
amdhsa.version:
  - 1
  - 2
...

	.end_amdgpu_metadata
